;; amdgpu-corpus repo=ROCm/rocFFT kind=compiled arch=gfx1201 opt=O3
	.text
	.amdgcn_target "amdgcn-amd-amdhsa--gfx1201"
	.amdhsa_code_object_version 6
	.protected	bluestein_single_fwd_len6144_dim1_half_op_CI_CI ; -- Begin function bluestein_single_fwd_len6144_dim1_half_op_CI_CI
	.globl	bluestein_single_fwd_len6144_dim1_half_op_CI_CI
	.p2align	8
	.type	bluestein_single_fwd_len6144_dim1_half_op_CI_CI,@function
bluestein_single_fwd_len6144_dim1_half_op_CI_CI: ; @bluestein_single_fwd_len6144_dim1_half_op_CI_CI
; %bb.0:
	s_load_b128 s[8:11], s[0:1], 0x28
	s_mov_b32 s2, ttmp9
	s_mov_b32 s3, 0
	s_mov_b32 s5, exec_lo
	s_wait_kmcnt 0x0
	v_cmpx_lt_u64_e64 s[2:3], s[8:9]
	s_cbranch_execz .LBB0_25
; %bb.1:
	s_clause 0x1
	s_load_b64 s[20:21], s[0:1], 0x0
	s_load_b64 s[8:9], s[0:1], 0x38
	v_dual_mov_b32 v21, s3 :: v_dual_mov_b32 v20, s2
	v_cmp_lt_u32_e64 s2, 0x17f, v0
	v_cmp_gt_u32_e32 vcc_lo, 0x180, v0
	v_lshlrev_b32_e32 v39, 2, v0
	s_and_saveexec_b32 s12, vcc_lo
	s_cbranch_execz .LBB0_3
; %bb.2:
	s_load_b64 s[4:5], s[0:1], 0x18
	s_wait_kmcnt 0x0
	s_load_b128 s[4:7], s[4:5], 0x0
	s_wait_kmcnt 0x0
	v_mad_co_u64_u32 v[1:2], null, s6, v20, 0
	v_mad_co_u64_u32 v[3:4], null, s4, v0, 0
	s_delay_alu instid0(VALU_DEP_1) | instskip(NEXT) | instid1(VALU_DEP_1)
	v_mad_co_u64_u32 v[5:6], null, s7, v20, v[2:3]
	v_mad_co_u64_u32 v[6:7], null, s5, v0, v[4:5]
	v_mov_b32_e32 v2, v5
	s_mul_u64 s[4:5], s[4:5], 0x600
	s_clause 0xf
	global_load_b32 v7, v39, s[20:21]
	global_load_b32 v8, v39, s[20:21] offset:1536
	global_load_b32 v9, v39, s[20:21] offset:3072
	;; [unrolled: 1-line block ×15, first 2 shown]
	v_lshlrev_b64_e32 v[1:2], 2, v[1:2]
	v_mov_b32_e32 v4, v6
	s_delay_alu instid0(VALU_DEP_2) | instskip(NEXT) | instid1(VALU_DEP_2)
	v_add_co_u32 v1, s3, s10, v1
	v_lshlrev_b64_e32 v[3:4], 2, v[3:4]
	s_wait_alu 0xf1ff
	s_delay_alu instid0(VALU_DEP_4) | instskip(NEXT) | instid1(VALU_DEP_2)
	v_add_co_ci_u32_e64 v2, s3, s11, v2, s3
	v_add_co_u32 v1, s3, v1, v3
	s_wait_alu 0xf1ff
	s_delay_alu instid0(VALU_DEP_2) | instskip(SKIP_1) | instid1(VALU_DEP_2)
	v_add_co_ci_u32_e64 v2, s3, v2, v4, s3
	s_wait_alu 0xfffe
	v_add_co_u32 v3, s3, v1, s4
	s_wait_alu 0xf1ff
	s_delay_alu instid0(VALU_DEP_2)
	v_add_co_ci_u32_e64 v4, s3, s5, v2, s3
	s_clause 0x1
	global_load_b32 v24, v[1:2], off
	global_load_b32 v25, v[3:4], off
	v_add_co_u32 v1, s3, v3, s4
	s_wait_alu 0xf1ff
	v_add_co_ci_u32_e64 v2, s3, s5, v4, s3
	s_delay_alu instid0(VALU_DEP_2) | instskip(SKIP_1) | instid1(VALU_DEP_2)
	v_add_co_u32 v3, s3, v1, s4
	s_wait_alu 0xf1ff
	v_add_co_ci_u32_e64 v4, s3, s5, v2, s3
	s_clause 0x1
	global_load_b32 v26, v[1:2], off
	global_load_b32 v27, v[3:4], off
	v_add_co_u32 v1, s3, v3, s4
	s_wait_alu 0xf1ff
	v_add_co_ci_u32_e64 v2, s3, s5, v4, s3
	s_delay_alu instid0(VALU_DEP_2) | instskip(SKIP_1) | instid1(VALU_DEP_2)
	v_add_co_u32 v3, s3, v1, s4
	s_wait_alu 0xf1ff
	v_add_co_ci_u32_e64 v4, s3, s5, v2, s3
	global_load_b32 v28, v[1:2], off
	global_load_b32 v29, v[3:4], off
	v_add_co_u32 v1, s3, v3, s4
	s_wait_alu 0xf1ff
	v_add_co_ci_u32_e64 v2, s3, s5, v4, s3
	s_delay_alu instid0(VALU_DEP_2) | instskip(SKIP_1) | instid1(VALU_DEP_2)
	v_add_co_u32 v3, s3, v1, s4
	s_wait_alu 0xf1ff
	v_add_co_ci_u32_e64 v4, s3, s5, v2, s3
	global_load_b32 v30, v[1:2], off
	v_add_co_u32 v1, s3, v3, s4
	s_wait_alu 0xf1ff
	v_add_co_ci_u32_e64 v2, s3, s5, v4, s3
	global_load_b32 v31, v[3:4], off
	global_load_b32 v32, v[1:2], off
	v_add_co_u32 v1, s3, v1, s4
	s_wait_alu 0xf1ff
	v_add_co_ci_u32_e64 v2, s3, s5, v2, s3
	s_delay_alu instid0(VALU_DEP_2) | instskip(SKIP_1) | instid1(VALU_DEP_2)
	v_add_co_u32 v3, s3, v1, s4
	s_wait_alu 0xf1ff
	v_add_co_ci_u32_e64 v4, s3, s5, v2, s3
	global_load_b32 v33, v[1:2], off
	v_add_co_u32 v1, s3, v3, s4
	s_wait_alu 0xf1ff
	v_add_co_ci_u32_e64 v2, s3, s5, v4, s3
	global_load_b32 v34, v[3:4], off
	;; [unrolled: 4-line block ×4, first 2 shown]
	v_add_co_u32 v3, s3, v1, s4
	s_wait_alu 0xf1ff
	v_add_co_ci_u32_e64 v4, s3, s5, v2, s3
	s_delay_alu instid0(VALU_DEP_2) | instskip(SKIP_1) | instid1(VALU_DEP_2)
	v_add_co_u32 v5, s3, v3, s4
	s_wait_alu 0xf1ff
	v_add_co_ci_u32_e64 v6, s3, s5, v4, s3
	global_load_b32 v1, v[1:2], off
	global_load_b32 v2, v[3:4], off
	;; [unrolled: 1-line block ×3, first 2 shown]
	s_wait_loadcnt 0x1f
	v_lshrrev_b32_e32 v4, 16, v7
	s_wait_loadcnt 0x1e
	v_lshrrev_b32_e32 v5, 16, v8
	;; [unrolled: 2-line block ×17, first 2 shown]
	v_mul_f16_e32 v51, v4, v24
	s_wait_loadcnt 0xe
	v_lshrrev_b32_e32 v52, 16, v25
	v_mul_f16_e32 v54, v5, v25
	v_mul_f16_e32 v4, v4, v47
	v_fma_f16 v47, v7, v47, -v51
	s_delay_alu instid0(VALU_DEP_4) | instskip(NEXT) | instid1(VALU_DEP_3)
	v_mul_f16_e32 v5, v5, v52
	v_fmac_f16_e32 v4, v7, v24
	v_fma_f16 v24, v8, v52, -v54
	s_delay_alu instid0(VALU_DEP_3)
	v_fmac_f16_e32 v5, v8, v25
	s_wait_loadcnt 0xd
	v_lshrrev_b32_e32 v7, 16, v26
	v_mul_f16_e32 v51, v6, v26
	s_wait_loadcnt 0xc
	v_lshrrev_b32_e32 v8, 16, v27
	v_pack_b32_f16 v4, v4, v47
	v_mul_f16_e32 v25, v37, v27
	v_mul_f16_e32 v6, v6, v7
	v_fma_f16 v7, v9, v7, -v51
	v_pack_b32_f16 v5, v5, v24
	s_delay_alu instid0(VALU_DEP_3)
	v_fmac_f16_e32 v6, v9, v26
	v_mul_f16_e32 v9, v37, v8
	s_wait_loadcnt 0xb
	v_lshrrev_b32_e32 v24, 16, v28
	v_fma_f16 v8, v10, v8, -v25
	v_mul_f16_e32 v25, v38, v28
	ds_store_2addr_stride64_b32 v39, v4, v5 offset1:6
	v_pack_b32_f16 v4, v6, v7
	v_fmac_f16_e32 v9, v10, v27
	v_mul_f16_e32 v5, v38, v24
	s_wait_loadcnt 0xa
	v_lshrrev_b32_e32 v6, 16, v29
	v_mul_f16_e32 v7, v40, v29
	v_fma_f16 v10, v11, v24, -v25
	v_pack_b32_f16 v8, v9, v8
	v_fmac_f16_e32 v5, v11, v28
	v_mul_f16_e32 v9, v40, v6
	v_fma_f16 v6, v12, v6, -v7
	s_wait_loadcnt 0x9
	v_lshrrev_b32_e32 v7, 16, v30
	v_mul_f16_e32 v11, v41, v30
	ds_store_2addr_stride64_b32 v39, v4, v8 offset0:12 offset1:18
	v_pack_b32_f16 v4, v5, v10
	v_fmac_f16_e32 v9, v12, v29
	v_mul_f16_e32 v5, v41, v7
	s_wait_loadcnt 0x8
	v_lshrrev_b32_e32 v8, 16, v31
	v_mul_f16_e32 v10, v42, v31
	v_fma_f16 v7, v13, v7, -v11
	v_pack_b32_f16 v6, v9, v6
	v_fmac_f16_e32 v5, v13, v30
	v_mul_f16_e32 v9, v42, v8
	v_fma_f16 v8, v14, v8, -v10
	s_wait_loadcnt 0x7
	v_lshrrev_b32_e32 v10, 16, v32
	v_mul_f16_e32 v11, v43, v32
	ds_store_2addr_stride64_b32 v39, v4, v6 offset0:24 offset1:30
	v_pack_b32_f16 v4, v5, v7
	v_fmac_f16_e32 v9, v14, v31
	v_mul_f16_e32 v5, v43, v10
	s_wait_loadcnt 0x6
	v_lshrrev_b32_e32 v6, 16, v33
	v_fma_f16 v7, v15, v10, -v11
	v_mul_f16_e32 v10, v44, v33
	v_pack_b32_f16 v8, v9, v8
	v_fmac_f16_e32 v5, v15, v32
	v_mul_f16_e32 v9, v44, v6
	s_wait_loadcnt 0x5
	v_lshrrev_b32_e32 v11, 16, v34
	v_mul_f16_e32 v12, v45, v34
	v_fma_f16 v6, v16, v6, -v10
	v_pack_b32_f16 v5, v5, v7
	v_fmac_f16_e32 v9, v16, v33
	v_mul_f16_e32 v7, v45, v11
	v_fma_f16 v10, v17, v11, -v12
	s_wait_loadcnt 0x4
	v_lshrrev_b32_e32 v11, 16, v35
	v_mul_f16_e32 v12, v46, v35
	v_pack_b32_f16 v6, v9, v6
	v_fmac_f16_e32 v7, v17, v34
	s_wait_loadcnt 0x3
	v_lshrrev_b32_e32 v9, 16, v36
	v_mul_f16_e32 v14, v48, v36
	v_mul_f16_e32 v13, v46, v11
	v_fma_f16 v11, v18, v11, -v12
	s_wait_loadcnt 0x2
	v_lshrrev_b32_e32 v12, 16, v1
	v_pack_b32_f16 v7, v7, v10
	v_mul_f16_e32 v10, v48, v9
	v_fma_f16 v9, v19, v9, -v14
	v_mul_f16_e32 v14, v49, v1
	s_wait_loadcnt 0x1
	v_lshrrev_b32_e32 v15, 16, v2
	s_wait_loadcnt 0x0
	v_lshrrev_b32_e32 v16, 16, v3
	v_mul_f16_e32 v17, v49, v12
	v_fmac_f16_e32 v13, v18, v35
	v_fmac_f16_e32 v10, v19, v36
	v_fma_f16 v12, v21, v12, -v14
	v_mul_f16_e32 v14, v50, v2
	v_mul_f16_e32 v18, v50, v15
	;; [unrolled: 1-line block ×4, first 2 shown]
	v_fmac_f16_e32 v17, v21, v1
	v_fma_f16 v1, v22, v15, -v14
	v_fmac_f16_e32 v18, v22, v2
	v_fmac_f16_e32 v19, v23, v3
	v_fma_f16 v2, v23, v16, -v24
	v_pack_b32_f16 v3, v13, v11
	v_pack_b32_f16 v9, v10, v9
	;; [unrolled: 1-line block ×5, first 2 shown]
	ds_store_2addr_stride64_b32 v39, v4, v8 offset0:36 offset1:42
	ds_store_2addr_stride64_b32 v39, v5, v6 offset0:48 offset1:54
	;; [unrolled: 1-line block ×5, first 2 shown]
.LBB0_3:
	s_or_b32 exec_lo, exec_lo, s12
	global_wb scope:SCOPE_SE
	s_wait_dscnt 0x0
	s_wait_kmcnt 0x0
	s_barrier_signal -1
	s_barrier_wait -1
	global_inv scope:SCOPE_SE
                                        ; implicit-def: $vgpr1
                                        ; implicit-def: $vgpr6
                                        ; implicit-def: $vgpr7
                                        ; implicit-def: $vgpr3
                                        ; implicit-def: $vgpr14
                                        ; implicit-def: $vgpr10
                                        ; implicit-def: $vgpr11
                                        ; implicit-def: $vgpr16
	s_and_saveexec_b32 s3, vcc_lo
	s_cbranch_execz .LBB0_5
; %bb.4:
	ds_load_2addr_stride64_b32 v[1:2], v39 offset1:6
	ds_load_2addr_stride64_b32 v[3:4], v39 offset0:12 offset1:18
	ds_load_2addr_stride64_b32 v[7:8], v39 offset0:24 offset1:72
	;; [unrolled: 1-line block ×7, first 2 shown]
.LBB0_5:
	s_wait_alu 0xfffe
	s_or_b32 exec_lo, exec_lo, s3
	s_wait_dscnt 0x0
	v_pk_add_f16 v11, v10, v11 neg_lo:[0,1] neg_hi:[0,1]
	v_pk_add_f16 v25, v1, v6 neg_lo:[0,1] neg_hi:[0,1]
	;; [unrolled: 1-line block ×5, first 2 shown]
	v_lshrrev_b32_e32 v13, 16, v11
	v_pk_add_f16 v19, v7, v8 neg_lo:[0,1] neg_hi:[0,1]
	v_lshrrev_b32_e32 v8, 16, v25
	v_pk_add_f16 v29, v4, v15 neg_lo:[0,1] neg_hi:[0,1]
	v_pk_add_f16 v12, v5, v12 neg_lo:[0,1] neg_hi:[0,1]
	v_lshrrev_b32_e32 v15, 16, v26
	v_sub_f16_e32 v30, v26, v13
	v_lshrrev_b32_e32 v13, 16, v28
	v_lshrrev_b32_e32 v6, 16, v19
	v_add_f16_e32 v14, v19, v8
	v_lshrrev_b32_e32 v17, 16, v27
	v_add_f16_e32 v31, v11, v15
	v_sub_f16_e32 v21, v27, v13
	v_lshrrev_b32_e32 v13, 16, v12
	v_lshrrev_b32_e32 v32, 16, v29
	v_pk_fma_f16 v1, v1, 2.0, v25 op_sel_hi:[1,0,1] neg_lo:[0,0,1] neg_hi:[0,0,1]
	v_pk_fma_f16 v7, v7, 2.0, v19 op_sel_hi:[1,0,1] neg_lo:[0,0,1] neg_hi:[0,0,1]
	;; [unrolled: 1-line block ×8, first 2 shown]
	v_sub_f16_e32 v16, v25, v6
	v_fma_f16 v8, v8, 2.0, -v14
	v_fma_f16 v23, v26, 2.0, -v30
	v_add_f16_e32 v22, v28, v17
	v_fma_f16 v33, v15, 2.0, -v31
	v_sub_f16_e32 v38, v29, v13
	v_add_f16_e32 v40, v12, v32
	v_pk_add_f16 v9, v1, v7 neg_lo:[0,1] neg_hi:[0,1]
	v_pk_add_f16 v7, v3, v10 neg_lo:[0,1] neg_hi:[0,1]
	;; [unrolled: 1-line block ×4, first 2 shown]
	s_load_b64 s[4:5], s[0:1], 0x20
	v_fma_f16 v6, v25, 2.0, -v16
	v_fma_f16 v15, v27, 2.0, -v21
	;; [unrolled: 1-line block ×3, first 2 shown]
	v_fmamk_f16 v13, v33, 0xb9a8, v8
	v_fma_f16 v41, v29, 2.0, -v38
	v_fma_f16 v32, v32, 2.0, -v40
	v_pk_fma_f16 v2, v1, 2.0, v9 op_sel_hi:[1,0,1] neg_lo:[0,0,1] neg_hi:[0,0,1]
	v_pk_fma_f16 v1, v3, 2.0, v7 op_sel_hi:[1,0,1] neg_lo:[0,0,1] neg_hi:[0,0,1]
	;; [unrolled: 1-line block ×3, first 2 shown]
	v_lshrrev_b32_e32 v5, 16, v7
	v_lshrrev_b32_e32 v10, 16, v9
	v_pk_fma_f16 v11, v4, 2.0, v12 op_sel_hi:[1,0,1] neg_lo:[0,0,1] neg_hi:[0,0,1]
	v_fmamk_f16 v18, v23, 0xb9a8, v6
	v_fmamk_f16 v24, v30, 0x39a8, v16
	v_fmac_f16_e32 v13, 0x39a8, v23
	v_fmamk_f16 v23, v31, 0x39a8, v14
	v_pk_add_f16 v1, v2, v1 neg_lo:[0,1] neg_hi:[0,1]
	v_fmamk_f16 v4, v41, 0xb9a8, v15
	v_sub_f16_e32 v34, v9, v5
	v_add_f16_e32 v25, v7, v10
	v_pk_add_f16 v7, v3, v11 neg_lo:[0,1] neg_hi:[0,1]
	v_fmamk_f16 v5, v32, 0xb9a8, v17
	v_lshrrev_b32_e32 v11, 16, v12
	v_lshrrev_b32_e32 v37, 16, v26
	v_fmamk_f16 v36, v38, 0x39a8, v21
	v_fmamk_f16 v35, v40, 0x39a8, v22
	v_fmac_f16_e32 v18, 0xb9a8, v33
	v_fmac_f16_e32 v24, 0xb9a8, v31
	;; [unrolled: 1-line block ×5, first 2 shown]
	v_sub_f16_e32 v28, v26, v11
	v_add_f16_e32 v27, v12, v37
	v_fmac_f16_e32 v36, 0xb9a8, v40
	v_fmac_f16_e32 v35, 0x39a8, v38
	v_pk_add_f16 v38, v1, v7 op_sel:[0,1] op_sel_hi:[1,0]
	v_pk_add_f16 v19, v1, v7 op_sel:[0,1] op_sel_hi:[1,0] neg_lo:[0,1] neg_hi:[0,1]
	v_fmamk_f16 v11, v4, 0x361f, v18
	v_fmamk_f16 v30, v5, 0x361f, v13
	;; [unrolled: 1-line block ×6, first 2 shown]
	v_lshrrev_b32_e32 v33, 16, v38
	global_wb scope:SCOPE_SE
	s_wait_kmcnt 0x0
	s_barrier_signal -1
	s_barrier_wait -1
	global_inv scope:SCOPE_SE
	s_and_saveexec_b32 s3, s2
	s_wait_alu 0xfffe
	s_xor_b32 s2, exec_lo, s3
; %bb.6:
                                        ; implicit-def: $vgpr16
                                        ; implicit-def: $vgpr14
                                        ; implicit-def: $vgpr6
                                        ; implicit-def: $vgpr8
                                        ; implicit-def: $vgpr21
                                        ; implicit-def: $vgpr22
                                        ; implicit-def: $vgpr15
                                        ; implicit-def: $vgpr17
                                        ; implicit-def: $vgpr18
                                        ; implicit-def: $vgpr13
                                        ; implicit-def: $vgpr24
                                        ; implicit-def: $vgpr23
                                        ; implicit-def: $vgpr9
                                        ; implicit-def: $vgpr2
                                        ; implicit-def: $vgpr26
                                        ; implicit-def: $vgpr3
                                        ; implicit-def: $vgpr1
                                        ; implicit-def: $vgpr34
                                        ; implicit-def: $vgpr25
                                        ; implicit-def: $vgpr7
                                        ; implicit-def: $vgpr38
                                        ; implicit-def: $vgpr10
                                        ; implicit-def: $vgpr37
; %bb.7:
	s_wait_alu 0xfffe
	s_or_saveexec_b32 s6, s2
	s_load_b64 s[2:3], s[0:1], 0x8
	v_fmac_f16_e32 v11, 0xbb64, v5
	v_fmac_f16_e32 v30, 0x3b64, v4
	v_fmac_f16_e32 v12, 0xb9a8, v27
	v_fmac_f16_e32 v31, 0x39a8, v28
	v_fmac_f16_e32 v29, 0xb61f, v35
	v_fmac_f16_e32 v32, 0x361f, v36
	v_lshlrev_b32_e32 v44, 6, v0
	s_xor_b32 exec_lo, exec_lo, s6
	s_cbranch_execz .LBB0_9
; %bb.8:
	v_fma_f16 v16, v16, 2.0, -v24
	v_fma_f16 v36, v21, 2.0, -v36
	;; [unrolled: 1-line block ×6, first 2 shown]
	v_fmamk_f16 v35, v36, 0xb61f, v16
	v_fma_f16 v27, v37, 2.0, -v27
	v_fma_f16 v6, v6, 2.0, -v18
	;; [unrolled: 1-line block ×4, first 2 shown]
	v_fmac_f16_e32 v35, 0xbb64, v22
	v_fmamk_f16 v22, v22, 0xb61f, v14
	v_fma_f16 v8, v8, 2.0, -v13
	v_fma_f16 v10, v10, 2.0, -v25
	v_bfi_b32 v21, 0xffff, v19, v38
	v_fma_f16 v38, v34, 2.0, -v12
	v_fma_f16 v28, v25, 2.0, -v31
	v_fma_f16 v34, v18, 2.0, -v11
	v_fmac_f16_e32 v22, 0x3b64, v36
	v_fmamk_f16 v36, v26, 0xb9a8, v9
	v_fmamk_f16 v17, v4, 0xbb64, v6
	;; [unrolled: 1-line block ×4, first 2 shown]
	v_pk_fma_f16 v15, v2, 2.0, v1 op_sel_hi:[1,0,1] neg_lo:[0,0,1] neg_hi:[0,0,1]
	v_fmac_f16_e32 v36, 0xb9a8, v27
	v_pk_fma_f16 v2, v3, 2.0, v7 op_sel_hi:[1,0,1] neg_lo:[0,0,1] neg_hi:[0,0,1]
	v_fmac_f16_e32 v17, 0xb61f, v5
	v_fmac_f16_e32 v18, 0x361f, v4
	;; [unrolled: 1-line block ×3, first 2 shown]
	v_fma_f16 v16, v16, 2.0, -v35
	v_fma_f16 v14, v14, 2.0, -v22
	v_fma_f16 v3, v9, 2.0, -v36
	v_pk_add_f16 v2, v15, v2 neg_lo:[0,1] neg_hi:[0,1]
	v_fma_f16 v4, v6, 2.0, -v17
	v_fma_f16 v5, v8, 2.0, -v18
	;; [unrolled: 1-line block ×6, first 2 shown]
	v_pk_fma_f16 v6, v15, 2.0, v2 op_sel_hi:[1,0,1] neg_lo:[0,0,1] neg_hi:[0,0,1]
	v_pack_b32_f16 v9, v16, v14
	v_pack_b32_f16 v7, v4, v5
	;; [unrolled: 1-line block ×3, first 2 shown]
	v_pk_fma_f16 v13, v1, 2.0, v21 op_sel_hi:[1,0,1] neg_lo:[0,0,1] neg_hi:[0,0,1]
	v_pack_b32_f16 v16, v24, v23
	v_pack_b32_f16 v15, v38, v28
	;; [unrolled: 1-line block ×6, first 2 shown]
	v_perm_b32 v24, v32, v29, 0x5040100
	v_perm_b32 v23, v31, v12, 0x5040100
	;; [unrolled: 1-line block ×3, first 2 shown]
	ds_store_b128 v44, v[6:9]
	ds_store_b128 v44, v[13:16] offset:16
	ds_store_b128 v44, v[2:5] offset:32
	ds_store_b128 v44, v[21:24] offset:48
.LBB0_9:
	s_or_b32 exec_lo, exec_lo, s6
	v_and_b32_e32 v7, 15, v0
	s_load_b128 s[4:7], s[4:5], 0x0
	global_wb scope:SCOPE_SE
	s_wait_dscnt 0x0
	s_wait_kmcnt 0x0
	s_barrier_signal -1
	s_barrier_wait -1
	v_mad_co_u64_u32 v[1:2], null, v7, 12, s[2:3]
	global_inv scope:SCOPE_SE
	v_or_b32_e32 v13, 0x200, v0
	v_or_b32_e32 v18, 0x1000, v39
	v_and_or_b32 v21, 0x7c0, v39, v7
	s_delay_alu instid0(VALU_DEP_3)
	v_lshlrev_b32_e32 v23, 2, v13
	global_load_b96 v[8:10], v[1:2], off
	ds_load_2addr_stride64_b32 v[1:2], v39 offset1:8
	ds_load_2addr_stride64_b32 v[3:4], v39 offset0:16 offset1:24
	ds_load_2addr_stride64_b32 v[5:6], v39 offset0:32 offset1:48
	;; [unrolled: 1-line block ×4, first 2 shown]
	ds_load_b32 v22, v39 offset:20480
	ds_load_b32 v24, v39 offset:22528
	v_and_or_b32 v18, 0x17c0, v18, v7
	v_lshlrev_b32_e32 v46, 2, v21
	v_and_or_b32 v7, 0xfc0, v23, v7
	global_wb scope:SCOPE_SE
	s_wait_loadcnt_dscnt 0x0
	s_barrier_signal -1
	v_lshlrev_b32_e32 v45, 2, v18
	s_barrier_wait -1
	v_lshlrev_b32_e32 v47, 2, v7
	global_inv scope:SCOPE_SE
	v_lshrrev_b32_e32 v7, 16, v1
	v_lshrrev_b32_e32 v18, 16, v4
	;; [unrolled: 1-line block ×15, first 2 shown]
	s_delay_alu instid0(VALU_DEP_3) | instskip(SKIP_1) | instid1(VALU_DEP_4)
	v_mul_f16_e32 v38, v18, v51
	v_mul_f16_e32 v40, v4, v51
	;; [unrolled: 1-line block ×18, first 2 shown]
	v_fma_f16 v4, v4, v8, -v38
	v_fmac_f16_e32 v40, v18, v8
	v_fma_f16 v6, v6, v9, -v41
	v_fmac_f16_e32 v42, v21, v9
	;; [unrolled: 2-line block ×9, first 2 shown]
	v_sub_f16_e32 v6, v1, v6
	v_sub_f16_e32 v22, v7, v42
	;; [unrolled: 1-line block ×12, first 2 shown]
	v_fma_f16 v1, v1, 2.0, -v6
	v_fma_f16 v7, v7, 2.0, -v22
	;; [unrolled: 1-line block ×8, first 2 shown]
	v_sub_f16_e32 v26, v17, v26
	v_fma_f16 v3, v3, 2.0, -v14
	v_fma_f16 v34, v34, 2.0, -v27
	;; [unrolled: 1-line block ×4, first 2 shown]
	v_sub_f16_e32 v23, v6, v23
	v_add_f16_e32 v15, v22, v15
	v_add_f16_e32 v35, v27, v21
	v_sub_f16_e32 v4, v1, v4
	v_sub_f16_e32 v21, v7, v36
	v_add_f16_e32 v38, v24, v18
	v_sub_f16_e32 v18, v14, v28
	v_sub_f16_e32 v5, v2, v5
	;; [unrolled: 1-line block ×3, first 2 shown]
	v_fma_f16 v41, v17, 2.0, -v26
	v_sub_f16_e32 v17, v3, v16
	v_sub_f16_e32 v36, v34, v40
	v_fma_f16 v6, v6, 2.0, -v23
	v_fma_f16 v22, v22, 2.0, -v15
	;; [unrolled: 1-line block ×9, first 2 shown]
	v_pack_b32_f16 v14, v23, v15
	v_fma_f16 v15, v3, 2.0, -v17
	v_fma_f16 v34, v34, 2.0, -v36
	v_pack_b32_f16 v4, v4, v21
	v_pack_b32_f16 v23, v26, v38
	;; [unrolled: 1-line block ×10, first 2 shown]
	ds_store_2addr_b32 v46, v4, v14 offset0:32 offset1:48
	v_pack_b32_f16 v4, v15, v34
	ds_store_2addr_b32 v47, v5, v23 offset0:32 offset1:48
	ds_store_2addr_b32 v45, v22, v26 offset0:32 offset1:48
	ds_store_2addr_b32 v46, v1, v3 offset1:16
	ds_store_2addr_b32 v47, v2, v6 offset1:16
	;; [unrolled: 1-line block ×3, first 2 shown]
	global_wb scope:SCOPE_SE
	s_wait_dscnt 0x0
	s_barrier_signal -1
	s_barrier_wait -1
	global_inv scope:SCOPE_SE
	ds_load_2addr_stride64_b32 v[21:22], v39 offset1:12
	ds_load_2addr_stride64_b32 v[27:28], v39 offset0:24 offset1:36
	ds_load_2addr_stride64_b32 v[25:26], v39 offset0:48 offset1:60
	;; [unrolled: 1-line block ×3, first 2 shown]
	v_mov_b32_e32 v14, 0
	v_or_b32_e32 v40, 0x3800, v39
	s_delay_alu instid0(VALU_DEP_2) | instskip(NEXT) | instid1(VALU_DEP_1)
	v_cmp_gt_u64_e64 s0, 0x300, v[13:14]
	s_and_saveexec_b32 s1, s0
	s_cbranch_execz .LBB0_11
; %bb.10:
	ds_load_2addr_stride64_b32 v[15:16], v39 offset0:8 offset1:20
	ds_load_2addr_stride64_b32 v[17:18], v39 offset0:32 offset1:44
	ds_load_b32 v19, v40
	ds_load_2addr_stride64_b32 v[11:12], v39 offset0:68 offset1:80
	ds_load_b32 v29, v39 offset:23552
	s_wait_dscnt 0x4
	v_lshrrev_b32_e32 v34, 16, v15
	v_lshrrev_b32_e32 v37, 16, v16
	s_wait_dscnt 0x3
	v_lshrrev_b32_e32 v36, 16, v17
	v_lshrrev_b32_e32 v35, 16, v18
	s_wait_dscnt 0x2
	v_lshrrev_b32_e32 v33, 16, v19
	s_wait_dscnt 0x1
	v_lshrrev_b32_e32 v30, 16, v11
	v_lshrrev_b32_e32 v31, 16, v12
	s_wait_dscnt 0x0
	v_lshrrev_b32_e32 v32, 16, v29
.LBB0_11:
	s_or_b32 exec_lo, exec_lo, s1
	v_and_b32_e32 v43, 63, v0
	v_lshlrev_b32_e32 v14, 3, v0
	s_wait_dscnt 0x3
	v_lshrrev_b32_e32 v60, 16, v22
	s_wait_dscnt 0x2
	v_lshrrev_b32_e32 v61, 16, v27
	v_lshrrev_b32_e32 v62, 16, v28
	v_mad_co_u64_u32 v[5:6], null, v43, 28, s[2:3]
	v_and_or_b32 v52, 0xe00, v14, v43
	s_wait_dscnt 0x1
	v_lshrrev_b32_e32 v63, 16, v25
	v_lshrrev_b32_e32 v64, 16, v26
	s_wait_dscnt 0x0
	v_lshrrev_b32_e32 v65, 16, v23
	v_lshrrev_b32_e32 v66, 16, v24
	v_lshlrev_b32_e32 v59, 2, v52
	s_clause 0x1
	global_load_b128 v[1:4], v[5:6], off offset:192
	global_load_b96 v[5:7], v[5:6], off offset:208
	v_lshlrev_b32_e32 v48, 3, v13
	v_lshrrev_b32_e32 v38, 16, v21
	v_or_b32_e32 v42, 0x2800, v39
	v_or_b32_e32 v41, 0x5800, v39
	global_wb scope:SCOPE_SE
	s_wait_loadcnt 0x0
	s_barrier_signal -1
	s_barrier_wait -1
	global_inv scope:SCOPE_SE
	v_lshrrev_b32_e32 v55, 16, v1
	v_lshrrev_b32_e32 v52, 16, v2
	v_lshrrev_b32_e32 v57, 16, v3
	v_lshrrev_b32_e32 v54, 16, v4
	v_lshrrev_b32_e32 v56, 16, v5
	v_lshrrev_b32_e32 v53, 16, v6
	v_lshrrev_b32_e32 v58, 16, v7
	v_mul_f16_e32 v13, v60, v55
	v_mul_f16_e32 v67, v22, v55
	;; [unrolled: 1-line block ×28, first 2 shown]
	v_fma_f16 v13, v22, v1, -v13
	v_fmac_f16_e32 v67, v60, v1
	v_fma_f16 v22, v27, v2, -v68
	v_fmac_f16_e32 v69, v61, v2
	;; [unrolled: 2-line block ×14, first 2 shown]
	v_sub_f16_e32 v25, v21, v25
	v_sub_f16_e32 v29, v38, v73
	;; [unrolled: 1-line block ×16, first 2 shown]
	v_fma_f16 v21, v21, 2.0, -v25
	v_fma_f16 v38, v38, 2.0, -v29
	;; [unrolled: 1-line block ×8, first 2 shown]
	v_sub_f16_e32 v30, v25, v30
	v_add_f16_e32 v64, v29, v23
	v_sub_f16_e32 v23, v26, v32
	v_add_f16_e32 v32, v31, v24
	v_fma_f16 v65, v15, 2.0, -v19
	v_fma_f16 v34, v34, 2.0, -v33
	;; [unrolled: 1-line block ×8, first 2 shown]
	v_sub_f16_e32 v12, v19, v12
	v_add_f16_e32 v11, v33, v35
	v_sub_f16_e32 v35, v36, v60
	v_sub_f16_e32 v22, v21, v22
	;; [unrolled: 1-line block ×3, first 2 shown]
	v_fma_f16 v61, v25, 2.0, -v30
	v_fma_f16 v29, v29, 2.0, -v64
	v_sub_f16_e32 v25, v62, v13
	v_sub_f16_e32 v27, v63, v27
	v_fma_f16 v68, v26, 2.0, -v23
	v_fma_f16 v31, v31, 2.0, -v32
	v_add_f16_e32 v28, v37, v28
	v_fmamk_f16 v69, v23, 0x39a8, v30
	v_fmamk_f16 v70, v32, 0x39a8, v64
	v_sub_f16_e32 v16, v65, v15
	v_sub_f16_e32 v13, v34, v17
	v_fma_f16 v15, v33, 2.0, -v11
	v_sub_f16_e32 v33, v66, v18
	v_sub_f16_e32 v73, v67, v24
	v_fmamk_f16 v24, v35, 0x39a8, v12
	v_fma_f16 v21, v21, 2.0, -v22
	v_fma_f16 v38, v38, 2.0, -v60
	;; [unrolled: 1-line block ×4, first 2 shown]
	v_fmamk_f16 v75, v68, 0xb9a8, v61
	v_fmamk_f16 v76, v31, 0xb9a8, v29
	v_fma_f16 v17, v19, 2.0, -v12
	v_fma_f16 v36, v36, 2.0, -v35
	;; [unrolled: 1-line block ×3, first 2 shown]
	v_fmamk_f16 v71, v28, 0x39a8, v11
	v_add_f16_e32 v77, v60, v25
	v_fmac_f16_e32 v69, 0xb9a8, v32
	v_fmac_f16_e32 v70, 0x39a8, v23
	v_fma_f16 v18, v34, 2.0, -v13
	v_fma_f16 v25, v66, 2.0, -v33
	v_fma_f16 v32, v67, 2.0, -v73
	v_sub_f16_e32 v23, v16, v73
	v_add_f16_e32 v73, v13, v33
	v_fmac_f16_e32 v24, 0xb9a8, v28
	v_sub_f16_e32 v28, v21, v62
	v_sub_f16_e32 v33, v38, v63
	v_fmac_f16_e32 v75, 0xb9a8, v31
	v_fmac_f16_e32 v76, 0x39a8, v68
	v_sub_f16_e32 v27, v22, v27
	v_fma_f16 v19, v65, 2.0, -v16
	v_fmamk_f16 v26, v36, 0xb9a8, v17
	v_fmamk_f16 v72, v37, 0xb9a8, v15
	v_fmac_f16_e32 v71, 0x39a8, v35
	v_sub_f16_e32 v74, v18, v32
	v_fma_f16 v21, v21, 2.0, -v28
	v_fma_f16 v32, v38, 2.0, -v33
	;; [unrolled: 1-line block ×8, first 2 shown]
	v_sub_f16_e32 v25, v19, v25
	v_fmac_f16_e32 v26, 0xb9a8, v37
	v_pack_b32_f16 v21, v21, v32
	v_pack_b32_f16 v29, v35, v29
	v_fmac_f16_e32 v72, 0x39a8, v36
	v_pack_b32_f16 v22, v22, v31
	v_pack_b32_f16 v30, v30, v34
	;; [unrolled: 1-line block ×6, first 2 shown]
	ds_store_2addr_stride64_b32 v59, v21, v29 offset1:1
	ds_store_2addr_stride64_b32 v59, v22, v30 offset0:2 offset1:3
	ds_store_2addr_stride64_b32 v59, v28, v31 offset0:4 offset1:5
	;; [unrolled: 1-line block ×3, first 2 shown]
	s_and_saveexec_b32 s1, s0
	s_cbranch_execz .LBB0_13
; %bb.12:
	v_fma_f16 v17, v17, 2.0, -v26
	v_fma_f16 v19, v19, 2.0, -v25
	v_and_or_b32 v21, 0x1e00, v48, v43
	v_fma_f16 v18, v18, 2.0, -v74
	v_fma_f16 v15, v15, 2.0, -v72
	;; [unrolled: 1-line block ×6, first 2 shown]
	v_lshlrev_b32_e32 v21, 2, v21
	v_pack_b32_f16 v18, v19, v18
	v_pack_b32_f16 v15, v17, v15
	;; [unrolled: 1-line block ×4, first 2 shown]
	v_perm_b32 v12, v74, v25, 0x5040100
	v_perm_b32 v16, v72, v26, 0x5040100
	v_perm_b32 v17, v73, v23, 0x5040100
	v_perm_b32 v19, v71, v24, 0x5040100
	ds_store_2addr_stride64_b32 v21, v18, v15 offset1:1
	ds_store_2addr_stride64_b32 v21, v13, v11 offset0:2 offset1:3
	ds_store_2addr_stride64_b32 v21, v12, v16 offset0:4 offset1:5
	;; [unrolled: 1-line block ×3, first 2 shown]
.LBB0_13:
	s_or_b32 exec_lo, exec_lo, s1
	v_add_co_u32 v11, s1, s2, v14
	s_delay_alu instid0(VALU_DEP_1)
	v_add_co_ci_u32_e64 v12, null, s3, 0, s1
	global_wb scope:SCOPE_SE
	s_wait_dscnt 0x0
	s_barrier_signal -1
	s_barrier_wait -1
	global_inv scope:SCOPE_SE
	global_load_b64 v[21:22], v[11:12], off offset:1984
	ds_load_2addr_stride64_b32 v[13:14], v39 offset1:8
	ds_load_2addr_stride64_b32 v[15:16], v39 offset0:32 offset1:48
	ds_load_2addr_stride64_b32 v[17:18], v39 offset0:64 offset1:72
	ds_load_b32 v19, v42
	ds_load_2addr_stride64_b32 v[27:28], v39 offset0:16 offset1:24
	ds_load_b32 v29, v39 offset:20480
	ds_load_b32 v30, v41
	ds_load_b32 v31, v40
	v_add_co_u32 v11, s1, v11, v39
	s_wait_alu 0xf1ff
	v_add_co_ci_u32_e64 v12, s1, 0, v12, s1
	global_wb scope:SCOPE_SE
	s_wait_loadcnt_dscnt 0x0
	s_barrier_signal -1
	s_barrier_wait -1
	global_inv scope:SCOPE_SE
	v_lshrrev_b32_e32 v32, 16, v13
	v_lshrrev_b32_e32 v33, 16, v15
	;; [unrolled: 1-line block ×14, first 2 shown]
	s_delay_alu instid0(VALU_DEP_2) | instskip(SKIP_1) | instid1(VALU_DEP_3)
	v_mul_f16_e32 v65, v33, v70
	v_mul_f16_e32 v66, v15, v70
	;; [unrolled: 1-line block ×16, first 2 shown]
	v_fma_f16 v15, v15, v21, -v65
	v_fmac_f16_e32 v66, v33, v21
	v_fma_f16 v17, v17, v22, -v67
	v_fmac_f16_e32 v68, v34, v22
	;; [unrolled: 2-line block ×8, first 2 shown]
	v_add_f16_e32 v34, v15, v17
	v_add_f16_e32 v60, v66, v68
	v_sub_f16_e32 v36, v66, v68
	v_add_f16_e32 v37, v32, v66
	v_add_f16_e32 v63, v19, v18
	;; [unrolled: 1-line block ×6, first 2 shown]
	v_sub_f16_e32 v83, v84, v86
	v_add_f16_e32 v85, v62, v84
	v_add_f16_e32 v84, v84, v86
	v_add_f16_e32 v33, v13, v15
	v_sub_f16_e32 v15, v15, v17
	v_add_f16_e32 v61, v14, v19
	v_fma_f16 v13, -0.5, v34, v13
	v_fmac_f16_e32 v32, -0.5, v60
	v_add_f16_e32 v65, v35, v76
	v_sub_f16_e32 v64, v76, v78
	v_sub_f16_e32 v19, v19, v18
	v_add_f16_e32 v67, v27, v16
	v_add_f16_e32 v77, v38, v80
	v_fmac_f16_e32 v14, -0.5, v63
	v_fmac_f16_e32 v35, -0.5, v66
	v_sub_f16_e32 v76, v80, v82
	v_sub_f16_e32 v16, v16, v29
	v_add_f16_e32 v80, v28, v31
	v_sub_f16_e32 v31, v31, v30
	v_fma_f16 v27, -0.5, v75, v27
	v_fmac_f16_e32 v38, -0.5, v79
	v_fmac_f16_e32 v28, -0.5, v81
	;; [unrolled: 1-line block ×3, first 2 shown]
	v_add_f16_e32 v17, v33, v17
	v_add_f16_e32 v33, v37, v68
	;; [unrolled: 1-line block ×3, first 2 shown]
	v_fmamk_f16 v61, v36, 0x3aee, v13
	v_fmac_f16_e32 v13, 0xbaee, v36
	v_fmamk_f16 v36, v15, 0xbaee, v32
	v_add_f16_e32 v34, v65, v78
	v_fmac_f16_e32 v32, 0x3aee, v15
	v_add_f16_e32 v29, v67, v29
	v_add_f16_e32 v37, v77, v82
	v_fmamk_f16 v15, v64, 0x3aee, v14
	v_fmamk_f16 v63, v19, 0xbaee, v35
	v_fmac_f16_e32 v14, 0xbaee, v64
	v_fmac_f16_e32 v35, 0x3aee, v19
	v_fmamk_f16 v19, v76, 0x3aee, v27
	v_fmamk_f16 v64, v16, 0xbaee, v38
	v_fmac_f16_e32 v38, 0x3aee, v16
	v_fmamk_f16 v16, v83, 0x3aee, v28
	v_fmamk_f16 v65, v31, 0xbaee, v62
	v_add_f16_e32 v30, v80, v30
	v_add_f16_e32 v60, v85, v86
	v_fmac_f16_e32 v27, 0xbaee, v76
	v_fmac_f16_e32 v28, 0xbaee, v83
	;; [unrolled: 1-line block ×3, first 2 shown]
	v_pack_b32_f16 v17, v17, v33
	v_pack_b32_f16 v31, v61, v36
	;; [unrolled: 1-line block ×12, first 2 shown]
	ds_store_2addr_stride64_b32 v39, v17, v31 offset1:8
	ds_store_2addr_stride64_b32 v39, v13, v18 offset0:16 offset1:24
	ds_store_2addr_stride64_b32 v39, v15, v29 offset0:32 offset1:48
	ds_store_b32 v42, v14
	ds_store_b32 v40, v19
	ds_store_2addr_stride64_b32 v39, v27, v30 offset0:64 offset1:72
	ds_store_b32 v39, v16 offset:20480
	ds_store_b32 v41, v28
	global_wb scope:SCOPE_SE
	s_wait_dscnt 0x0
	s_barrier_signal -1
	s_barrier_wait -1
	global_inv scope:SCOPE_SE
	s_clause 0x2
	global_load_b96 v[17:19], v[11:12], off offset:6080
	global_load_b96 v[14:16], v[11:12], off offset:12224
	;; [unrolled: 1-line block ×3, first 2 shown]
	ds_load_2addr_stride64_b32 v[28:29], v39 offset1:8
	ds_load_2addr_stride64_b32 v[31:32], v39 offset0:16 offset1:24
	ds_load_2addr_stride64_b32 v[33:34], v39 offset0:32 offset1:48
	ds_load_2addr_stride64_b32 v[35:36], v39 offset0:64 offset1:72
	ds_load_b32 v27, v40
	ds_load_b32 v30, v39 offset:20480
	ds_load_b32 v37, v42
	ds_load_b32 v38, v41
	s_wait_dscnt 0x7
	v_lshrrev_b32_e32 v75, 16, v28
	s_wait_dscnt 0x6
	v_lshrrev_b32_e32 v76, 16, v32
	;; [unrolled: 2-line block ×4, first 2 shown]
	v_lshrrev_b32_e32 v80, 16, v33
	s_wait_dscnt 0x3
	v_lshrrev_b32_e32 v81, 16, v27
	s_wait_dscnt 0x2
	;; [unrolled: 2-line block ×3, first 2 shown]
	v_lshrrev_b32_e32 v84, 16, v37
	v_lshrrev_b32_e32 v85, 16, v35
	s_wait_dscnt 0x0
	v_lshrrev_b32_e32 v86, 16, v38
	v_lshrrev_b32_e32 v79, 16, v29
	v_lshrrev_b32_e32 v83, 16, v31
	s_wait_loadcnt 0x2
	v_lshrrev_b32_e32 v68, 16, v17
	v_lshrrev_b32_e32 v67, 16, v18
	v_lshrrev_b32_e32 v66, 16, v19
	s_wait_loadcnt 0x1
	;; [unrolled: 4-line block ×3, first 2 shown]
	v_lshrrev_b32_e32 v62, 16, v11
	v_lshrrev_b32_e32 v61, 16, v12
	;; [unrolled: 1-line block ×3, first 2 shown]
	v_mul_f16_e32 v87, v76, v68
	v_mul_f16_e32 v88, v32, v68
	;; [unrolled: 1-line block ×18, first 2 shown]
	v_fma_f16 v32, v32, v17, -v87
	v_fmac_f16_e32 v88, v76, v17
	v_fma_f16 v34, v34, v18, -v89
	v_fmac_f16_e32 v90, v77, v18
	;; [unrolled: 2-line block ×9, first 2 shown]
	v_sub_f16_e32 v34, v28, v34
	v_sub_f16_e32 v77, v75, v90
	;; [unrolled: 1-line block ×12, first 2 shown]
	v_fma_f16 v87, v28, 2.0, -v34
	v_fma_f16 v89, v75, 2.0, -v77
	;; [unrolled: 1-line block ×4, first 2 shown]
	v_sub_f16_e32 v28, v34, v76
	v_fma_f16 v88, v29, 2.0, -v82
	v_fma_f16 v90, v79, 2.0, -v84
	;; [unrolled: 1-line block ×4, first 2 shown]
	v_sub_f16_e32 v30, v82, v30
	v_add_f16_e32 v76, v84, v27
	v_fma_f16 v91, v31, 2.0, -v85
	v_fma_f16 v92, v83, 2.0, -v86
	;; [unrolled: 1-line block ×4, first 2 shown]
	v_add_f16_e32 v75, v77, v36
	v_sub_f16_e32 v36, v85, v38
	v_add_f16_e32 v78, v86, v35
	v_sub_f16_e32 v27, v87, v32
	v_sub_f16_e32 v81, v89, v80
	v_fma_f16 v32, v34, 2.0, -v28
	v_sub_f16_e32 v29, v88, v29
	v_sub_f16_e32 v80, v90, v33
	v_fma_f16 v34, v82, 2.0, -v30
	v_fma_f16 v79, v84, 2.0, -v76
	v_sub_f16_e32 v35, v91, v31
	v_sub_f16_e32 v83, v92, v37
	v_fma_f16 v38, v85, 2.0, -v36
	v_fma_f16 v82, v86, 2.0, -v78
	;; [unrolled: 1-line block ×9, first 2 shown]
	v_pack_b32_f16 v88, v27, v81
	v_pack_b32_f16 v89, v34, v79
	;; [unrolled: 1-line block ×11, first 2 shown]
	ds_store_2addr_stride64_b32 v39, v89, v88 offset0:32 offset1:48
	v_pack_b32_f16 v88, v37, v86
	ds_store_b32 v40, v90
	ds_store_b32 v42, v91
	ds_store_2addr_stride64_b32 v39, v92, v93 offset0:64 offset1:72
	ds_store_b32 v39, v94 offset:20480
	ds_store_b32 v41, v95
	ds_store_2addr_stride64_b32 v39, v96, v97 offset1:8
	ds_store_2addr_stride64_b32 v39, v88, v87 offset0:16 offset1:24
	global_wb scope:SCOPE_SE
	s_wait_dscnt 0x0
	s_barrier_signal -1
	s_barrier_wait -1
	global_inv scope:SCOPE_SE
	s_and_saveexec_b32 s1, vcc_lo
	s_cbranch_execz .LBB0_15
; %bb.14:
	s_add_nc_u64 s[2:3], s[20:21], 0x6000
	s_clause 0xf
	global_load_b32 v103, v39, s[20:21] offset:24576
	global_load_b32 v104, v39, s[2:3] offset:1536
	;; [unrolled: 1-line block ×16, first 2 shown]
	ds_load_2addr_stride64_b32 v[87:88], v39 offset1:6
	ds_load_2addr_stride64_b32 v[89:90], v39 offset0:12 offset1:18
	ds_load_2addr_stride64_b32 v[91:92], v39 offset0:24 offset1:30
	ds_load_2addr_stride64_b32 v[93:94], v39 offset0:36 offset1:42
	ds_load_2addr_stride64_b32 v[95:96], v39 offset0:48 offset1:54
	ds_load_2addr_stride64_b32 v[97:98], v39 offset0:60 offset1:66
	ds_load_2addr_stride64_b32 v[99:100], v39 offset0:72 offset1:78
	ds_load_2addr_stride64_b32 v[101:102], v39 offset0:84 offset1:90
	s_wait_dscnt 0x7
	v_lshrrev_b32_e32 v119, 16, v87
	v_lshrrev_b32_e32 v120, 16, v88
	s_wait_dscnt 0x6
	v_lshrrev_b32_e32 v121, 16, v89
	v_lshrrev_b32_e32 v122, 16, v90
	;; [unrolled: 3-line block ×8, first 2 shown]
	s_wait_loadcnt 0xf
	v_lshrrev_b32_e32 v135, 16, v103
	s_wait_loadcnt 0xe
	v_lshrrev_b32_e32 v136, 16, v104
	;; [unrolled: 2-line block ×16, first 2 shown]
	v_mul_f16_e64 v151, v119, v135
	v_mul_f16_e64 v135, v87, v135
	;; [unrolled: 1-line block ×32, first 2 shown]
	v_fma_f16 v87, v87, v103, -v151
	v_fmac_f16_e64 v135, v119, v103
	v_fma_f16 v88, v88, v104, -v152
	v_fmac_f16_e64 v136, v120, v104
	;; [unrolled: 2-line block ×16, first 2 shown]
	v_pack_b32_f16 v87, v87, v135
	v_pack_b32_f16 v88, v88, v136
	;; [unrolled: 1-line block ×16, first 2 shown]
	ds_store_2addr_stride64_b32 v39, v87, v88 offset1:6
	ds_store_2addr_stride64_b32 v39, v89, v90 offset0:12 offset1:18
	ds_store_2addr_stride64_b32 v39, v91, v92 offset0:24 offset1:30
	;; [unrolled: 1-line block ×7, first 2 shown]
.LBB0_15:
	s_wait_alu 0xfffe
	s_or_b32 exec_lo, exec_lo, s1
	global_wb scope:SCOPE_SE
	s_wait_dscnt 0x0
	s_barrier_signal -1
	s_barrier_wait -1
	global_inv scope:SCOPE_SE
	s_and_saveexec_b32 s1, vcc_lo
	s_cbranch_execz .LBB0_17
; %bb.16:
	ds_load_2addr_stride64_b32 v[31:32], v39 offset1:6
	ds_load_2addr_stride64_b32 v[27:28], v39 offset0:12 offset1:18
	ds_load_2addr_stride64_b32 v[33:34], v39 offset0:24 offset1:30
	;; [unrolled: 1-line block ×7, first 2 shown]
	s_wait_dscnt 0x7
	v_lshrrev_b32_e32 v85, 16, v31
	v_lshrrev_b32_e32 v77, 16, v32
	s_wait_dscnt 0x6
	v_lshrrev_b32_e32 v81, 16, v27
	v_lshrrev_b32_e32 v75, 16, v28
	;; [unrolled: 3-line block ×8, first 2 shown]
.LBB0_17:
	s_wait_alu 0xfffe
	s_or_b32 exec_lo, exec_lo, s1
	v_sub_f16_e32 v37, v31, v37
	v_sub_f16_e32 v86, v85, v86
	;; [unrolled: 1-line block ×6, first 2 shown]
	v_fma_f16 v25, v31, 2.0, -v37
	v_fma_f16 v31, v85, 2.0, -v86
	v_sub_f16_e32 v85, v81, v83
	v_fma_f16 v83, v84, 2.0, -v74
	v_fma_f16 v84, v27, 2.0, -v35
	v_sub_f16_e32 v88, v80, v73
	v_fma_f16 v27, v29, 2.0, -v23
	v_sub_f16_e32 v38, v32, v38
	v_sub_f16_e32 v82, v77, v82
	;; [unrolled: 1-line block ×6, first 2 shown]
	v_fma_f16 v33, v33, 2.0, -v87
	v_fma_f16 v81, v81, 2.0, -v85
	;; [unrolled: 1-line block ×6, first 2 shown]
	v_sub_f16_e32 v78, v75, v78
	v_sub_f16_e32 v24, v30, v24
	v_fma_f16 v91, v28, 2.0, -v36
	v_fma_f16 v93, v76, 2.0, -v71
	v_sub_f16_e32 v28, v31, v83
	v_add_f16_e32 v77, v74, v37
	v_sub_f16_e32 v73, v86, v87
	v_sub_f16_e32 v87, v84, v27
	v_add_f16_e32 v83, v72, v38
	v_add_f16_e32 v71, v71, v36
	v_fma_f16 v90, v79, 2.0, -v72
	v_fma_f16 v75, v75, 2.0, -v78
	;; [unrolled: 1-line block ×3, first 2 shown]
	v_sub_f16_e32 v94, v81, v29
	v_fma_f16 v29, v37, 2.0, -v77
	v_fma_f16 v37, v84, 2.0, -v87
	v_add_f16_e32 v95, v88, v35
	v_sub_f16_e32 v23, v85, v23
	v_sub_f16_e32 v79, v32, v34
	;; [unrolled: 1-line block ×3, first 2 shown]
	v_fma_f16 v34, v38, 2.0, -v83
	v_sub_f16_e32 v24, v78, v24
	v_fma_f16 v36, v36, 2.0, -v71
	v_sub_f16_e32 v33, v25, v33
	;; [unrolled: 2-line block ×3, first 2 shown]
	v_fma_f16 v35, v35, 2.0, -v95
	v_fma_f16 v72, v85, 2.0, -v23
	v_sub_f16_e32 v38, v91, v92
	v_sub_f16_e32 v92, v75, v93
	v_fma_f16 v74, v82, 2.0, -v84
	v_fma_f16 v93, v78, 2.0, -v24
	v_fmamk_f16 v86, v36, 0xb9a8, v34
	v_fma_f16 v26, v31, 2.0, -v28
	v_fma_f16 v81, v81, 2.0, -v94
	;; [unrolled: 1-line block ×5, first 2 shown]
	v_fmamk_f16 v80, v35, 0xb9a8, v29
	v_fmamk_f16 v78, v72, 0xb9a8, v27
	;; [unrolled: 1-line block ×4, first 2 shown]
	v_add_f16_e32 v88, v94, v33
	v_sub_f16_e32 v85, v28, v87
	v_fmamk_f16 v87, v93, 0xb9a8, v74
	v_fmac_f16_e32 v86, 0x39a8, v93
	v_fmamk_f16 v93, v71, 0x39a8, v83
	v_fmamk_f16 v94, v24, 0x39a8, v84
	v_fma_f16 v25, v25, 2.0, -v33
	v_fma_f16 v31, v32, 2.0, -v79
	v_sub_f16_e32 v32, v26, v81
	v_fmac_f16_e32 v80, 0x39a8, v72
	v_fmac_f16_e32 v78, 0xb9a8, v35
	v_fmac_f16_e32 v90, 0x39a8, v23
	v_fmac_f16_e32 v89, 0xb9a8, v95
	v_sub_f16_e32 v81, v30, v91
	v_fmac_f16_e32 v87, 0xb9a8, v36
	v_add_f16_e32 v92, v92, v79
	v_sub_f16_e32 v91, v76, v38
	v_fmac_f16_e32 v93, 0x39a8, v24
	v_fmac_f16_e32 v94, 0xb9a8, v71
	v_sub_f16_e32 v75, v25, v37
	v_sub_f16_e32 v82, v31, v82
	v_fmamk_f16 v23, v86, 0x361f, v80
	v_fmamk_f16 v38, v87, 0x361f, v78
	;; [unrolled: 1-line block ×6, first 2 shown]
	v_add_f16_e32 v35, v81, v75
	v_sub_f16_e32 v36, v32, v82
	v_fmac_f16_e32 v23, 0x3b64, v87
	v_fmac_f16_e32 v38, 0xbb64, v86
	;; [unrolled: 1-line block ×6, first 2 shown]
	global_wb scope:SCOPE_SE
	s_barrier_signal -1
	s_barrier_wait -1
	global_inv scope:SCOPE_SE
	s_and_saveexec_b32 s1, vcc_lo
	s_cbranch_execz .LBB0_19
; %bb.18:
	v_fma_f16 v77, v77, 2.0, -v90
	v_fma_f16 v84, v84, 2.0, -v94
	;; [unrolled: 1-line block ×8, first 2 shown]
	v_fmamk_f16 v89, v83, 0xb61f, v77
	v_fmamk_f16 v90, v84, 0xb61f, v73
	v_fma_f16 v76, v76, 2.0, -v91
	v_fma_f16 v28, v28, 2.0, -v85
	;; [unrolled: 1-line block ×6, first 2 shown]
	v_fmamk_f16 v91, v79, 0xb9a8, v33
	v_fma_f16 v93, v80, 2.0, -v23
	v_fmac_f16_e32 v89, 0x3b64, v84
	v_fmac_f16_e32 v90, 0xbb64, v83
	v_fma_f16 v83, v78, 2.0, -v38
	v_fma_f16 v84, v75, 2.0, -v35
	;; [unrolled: 1-line block ×6, first 2 shown]
	v_fmamk_f16 v75, v76, 0xb9a8, v28
	v_fmamk_f16 v78, v34, 0xbb64, v29
	;; [unrolled: 1-line block ×3, first 2 shown]
	v_fmac_f16_e32 v91, 0x39a8, v76
	v_sub_f16_e32 v76, v25, v31
	v_sub_f16_e32 v81, v26, v30
	v_fmac_f16_e32 v75, 0xb9a8, v79
	v_fmac_f16_e32 v78, 0x361f, v74
	v_fmac_f16_e32 v80, 0xb61f, v34
	v_fma_f16 v77, v77, 2.0, -v89
	v_fma_f16 v73, v73, 2.0, -v90
	;; [unrolled: 1-line block ×11, first 2 shown]
	v_pack_b32_f16 v25, v25, v26
	v_pack_b32_f16 v28, v77, v73
	;; [unrolled: 1-line block ×12, first 2 shown]
	v_perm_b32 v80, v72, v71, 0x5040100
	v_perm_b32 v79, v37, v24, 0x5040100
	;; [unrolled: 1-line block ×4, first 2 shown]
	ds_store_b128 v44, v[25:28]
	ds_store_b128 v44, v[29:32] offset:16
	ds_store_b128 v44, v[73:76] offset:32
	;; [unrolled: 1-line block ×3, first 2 shown]
.LBB0_19:
	s_wait_alu 0xfffe
	s_or_b32 exec_lo, exec_lo, s1
	global_wb scope:SCOPE_SE
	s_wait_dscnt 0x0
	s_barrier_signal -1
	s_barrier_wait -1
	global_inv scope:SCOPE_SE
	ds_load_2addr_stride64_b32 v[25:26], v39 offset1:8
	ds_load_2addr_stride64_b32 v[27:28], v39 offset0:16 offset1:24
	ds_load_2addr_stride64_b32 v[29:30], v39 offset0:32 offset1:48
	;; [unrolled: 1-line block ×3, first 2 shown]
	ds_load_b32 v33, v40
	ds_load_b32 v34, v39 offset:20480
	ds_load_b32 v44, v42
	ds_load_b32 v73, v41
	global_wb scope:SCOPE_SE
	s_wait_dscnt 0x0
	s_barrier_signal -1
	s_barrier_wait -1
	global_inv scope:SCOPE_SE
	v_lshrrev_b32_e32 v74, 16, v25
	v_lshrrev_b32_e32 v75, 16, v28
	;; [unrolled: 1-line block ×5, first 2 shown]
	v_mul_f16_e32 v86, v51, v28
	v_mul_f16_e32 v87, v51, v75
	;; [unrolled: 1-line block ×4, first 2 shown]
	v_lshrrev_b32_e32 v83, 16, v44
	v_lshrrev_b32_e32 v84, 16, v31
	v_mul_f16_e32 v91, v49, v77
	v_fmac_f16_e32 v87, v8, v28
	v_fma_f16 v28, v8, v75, -v86
	v_fmac_f16_e32 v89, v9, v30
	v_fma_f16 v30, v9, v76, -v88
	v_mul_f16_e32 v75, v51, v79
	v_mul_f16_e32 v76, v51, v29
	v_lshrrev_b32_e32 v80, 16, v33
	v_lshrrev_b32_e32 v81, 16, v34
	v_mul_f16_e32 v90, v49, v32
	v_fmac_f16_e32 v91, v10, v32
	v_fmac_f16_e32 v75, v8, v29
	v_fma_f16 v29, v8, v79, -v76
	v_mul_f16_e32 v76, v51, v83
	v_mul_f16_e32 v79, v50, v84
	v_lshrrev_b32_e32 v85, 16, v73
	v_fma_f16 v32, v10, v77, -v90
	v_mul_f16_e32 v77, v50, v80
	v_mul_f16_e32 v86, v50, v33
	;; [unrolled: 1-line block ×5, first 2 shown]
	v_fmac_f16_e32 v76, v8, v44
	v_fmac_f16_e32 v79, v9, v31
	v_sub_f16_e32 v31, v25, v89
	v_sub_f16_e32 v44, v87, v91
	v_fmac_f16_e32 v77, v9, v33
	v_fma_f16 v33, v9, v80, -v86
	v_fmac_f16_e32 v88, v10, v34
	v_mul_f16_e32 v34, v49, v34
	v_fma_f16 v8, v8, v83, -v51
	v_fma_f16 v9, v9, v84, -v50
	v_mul_f16_e32 v50, v49, v85
	v_fma_f16 v25, v25, 2.0, -v31
	v_fma_f16 v51, v87, 2.0, -v44
	v_mul_f16_e32 v49, v49, v73
	v_fma_f16 v34, v10, v81, -v34
	v_fmac_f16_e32 v50, v10, v73
	v_sub_f16_e32 v73, v75, v88
	v_sub_f16_e32 v51, v25, v51
	v_fma_f16 v10, v10, v85, -v49
	v_sub_f16_e32 v49, v26, v77
	v_lshrrev_b32_e32 v78, 16, v26
	v_lshrrev_b32_e32 v82, 16, v27
	v_sub_f16_e32 v30, v74, v30
	v_sub_f16_e32 v32, v28, v32
	v_fma_f16 v77, v25, 2.0, -v51
	v_fma_f16 v25, v26, 2.0, -v49
	v_sub_f16_e32 v26, v29, v34
	v_fma_f16 v34, v75, 2.0, -v73
	v_sub_f16_e32 v33, v78, v33
	v_fma_f16 v74, v74, 2.0, -v30
	v_fma_f16 v28, v28, 2.0, -v32
	v_sub_f16_e32 v79, v27, v79
	v_sub_f16_e32 v34, v25, v34
	;; [unrolled: 1-line block ×5, first 2 shown]
	v_fma_f16 v44, v78, 2.0, -v33
	v_fma_f16 v29, v29, 2.0, -v26
	v_sub_f16_e32 v10, v8, v10
	v_sub_f16_e32 v28, v74, v28
	v_add_f16_e32 v32, v31, v32
	v_fma_f16 v78, v25, 2.0, -v34
	v_fma_f16 v27, v27, 2.0, -v79
	v_fma_f16 v25, v76, 2.0, -v9
	v_sub_f16_e32 v29, v44, v29
	v_add_f16_e32 v81, v49, v26
	v_fma_f16 v50, v82, 2.0, -v80
	v_fma_f16 v8, v8, 2.0, -v10
	;; [unrolled: 1-line block ×5, first 2 shown]
	v_sub_f16_e32 v25, v27, v25
	v_sub_f16_e32 v73, v33, v73
	v_fma_f16 v76, v44, 2.0, -v29
	v_fma_f16 v82, v49, 2.0, -v81
	v_sub_f16_e32 v44, v50, v8
	v_add_f16_e32 v26, v79, v10
	v_sub_f16_e32 v49, v80, v9
	v_fma_f16 v8, v27, 2.0, -v25
	v_pack_b32_f16 v27, v77, v74
	v_pack_b32_f16 v30, v31, v30
	v_fma_f16 v33, v33, 2.0, -v73
	v_fma_f16 v10, v50, 2.0, -v44
	;; [unrolled: 1-line block ×4, first 2 shown]
	ds_store_2addr_b32 v46, v27, v30 offset1:16
	v_pack_b32_f16 v27, v51, v28
	v_pack_b32_f16 v28, v32, v75
	v_pack_b32_f16 v30, v78, v76
	v_pack_b32_f16 v31, v82, v33
	v_pack_b32_f16 v29, v34, v29
	v_pack_b32_f16 v32, v81, v73
	v_pack_b32_f16 v33, v8, v10
	v_pack_b32_f16 v34, v9, v50
	v_pack_b32_f16 v51, v25, v44
	v_pack_b32_f16 v73, v26, v49
	ds_store_2addr_b32 v46, v27, v28 offset0:32 offset1:48
	ds_store_2addr_b32 v47, v30, v31 offset1:16
	ds_store_2addr_b32 v47, v29, v32 offset0:32 offset1:48
	ds_store_2addr_b32 v45, v33, v34 offset1:16
	ds_store_2addr_b32 v45, v51, v73 offset0:32 offset1:48
	global_wb scope:SCOPE_SE
	s_wait_dscnt 0x0
	s_barrier_signal -1
	s_barrier_wait -1
	global_inv scope:SCOPE_SE
	ds_load_2addr_stride64_b32 v[27:28], v39 offset1:12
	ds_load_2addr_stride64_b32 v[33:34], v39 offset0:24 offset1:36
	ds_load_2addr_stride64_b32 v[31:32], v39 offset0:48 offset1:60
	;; [unrolled: 1-line block ×3, first 2 shown]
	s_and_saveexec_b32 s1, s0
	s_cbranch_execz .LBB0_21
; %bb.20:
	ds_load_2addr_stride64_b32 v[8:9], v39 offset0:8 offset1:20
	ds_load_2addr_stride64_b32 v[25:26], v39 offset0:32 offset1:44
	ds_load_b32 v35, v40
	ds_load_2addr_stride64_b32 v[23:24], v39 offset0:68 offset1:80
	ds_load_b32 v71, v39 offset:23552
	s_wait_dscnt 0x4
	v_lshrrev_b32_e32 v10, 16, v8
	v_lshrrev_b32_e32 v50, 16, v9
	s_wait_dscnt 0x3
	v_lshrrev_b32_e32 v44, 16, v25
	v_lshrrev_b32_e32 v49, 16, v26
	s_wait_dscnt 0x2
	v_lshrrev_b32_e32 v36, 16, v35
	s_wait_dscnt 0x1
	v_lshrrev_b32_e32 v38, 16, v23
	v_lshrrev_b32_e32 v37, 16, v24
	s_wait_dscnt 0x0
	v_lshrrev_b32_e32 v72, 16, v71
.LBB0_21:
	s_wait_alu 0xfffe
	s_or_b32 exec_lo, exec_lo, s1
	s_wait_dscnt 0x3
	v_lshrrev_b32_e32 v46, 16, v28
	s_wait_dscnt 0x2
	v_lshrrev_b32_e32 v47, 16, v33
	v_lshrrev_b32_e32 v51, 16, v34
	v_mul_f16_e32 v80, v52, v33
	s_wait_dscnt 0x1
	v_lshrrev_b32_e32 v73, 16, v31
	v_mul_f16_e32 v76, v55, v46
	v_mul_f16_e32 v79, v52, v47
	v_lshrrev_b32_e32 v74, 16, v32
	v_mul_f16_e32 v78, v55, v28
	s_wait_dscnt 0x0
	v_lshrrev_b32_e32 v75, 16, v29
	v_fmac_f16_e32 v76, v1, v28
	v_mul_f16_e32 v28, v57, v51
	v_fmac_f16_e32 v79, v2, v33
	v_fma_f16 v33, v2, v47, -v80
	v_mul_f16_e32 v47, v57, v34
	v_lshrrev_b32_e32 v77, 16, v30
	v_fma_f16 v46, v1, v46, -v78
	v_fmac_f16_e32 v28, v3, v34
	v_mul_f16_e32 v34, v54, v73
	v_mul_f16_e32 v78, v54, v31
	;; [unrolled: 1-line block ×3, first 2 shown]
	v_fma_f16 v47, v3, v51, -v47
	v_mul_f16_e32 v51, v56, v32
	v_fmac_f16_e32 v34, v4, v31
	v_fma_f16 v31, v4, v73, -v78
	v_fmac_f16_e32 v80, v5, v32
	v_mul_f16_e32 v32, v53, v75
	v_fma_f16 v51, v5, v74, -v51
	v_mul_f16_e32 v73, v53, v29
	v_mul_f16_e32 v74, v58, v77
	;; [unrolled: 1-line block ×3, first 2 shown]
	v_lshrrev_b32_e32 v45, 16, v27
	v_fmac_f16_e32 v32, v6, v29
	v_sub_f16_e32 v29, v27, v34
	v_fma_f16 v34, v6, v75, -v73
	v_fmac_f16_e32 v74, v7, v30
	v_fma_f16 v30, v7, v77, -v78
	v_sub_f16_e32 v31, v45, v31
	v_sub_f16_e32 v32, v79, v32
	v_sub_f16_e32 v34, v33, v34
	v_sub_f16_e32 v73, v76, v80
	v_sub_f16_e32 v51, v46, v51
	v_sub_f16_e32 v74, v28, v74
	v_sub_f16_e32 v30, v47, v30
	v_fma_f16 v75, v79, 2.0, -v32
	v_fma_f16 v33, v33, 2.0, -v34
	v_add_f16_e32 v34, v29, v34
	v_fma_f16 v28, v28, 2.0, -v74
	v_fma_f16 v47, v47, 2.0, -v30
	v_sub_f16_e32 v32, v31, v32
	v_add_f16_e32 v30, v73, v30
	v_sub_f16_e32 v74, v51, v74
	v_fma_f16 v27, v27, 2.0, -v29
	v_fma_f16 v45, v45, 2.0, -v31
	;; [unrolled: 1-line block ×8, first 2 shown]
	v_sub_f16_e32 v75, v27, v75
	v_sub_f16_e32 v33, v45, v33
	v_sub_f16_e32 v28, v76, v28
	v_sub_f16_e32 v47, v46, v47
	v_fmamk_f16 v77, v73, 0xb9a8, v29
	v_fmamk_f16 v78, v51, 0xb9a8, v31
	v_fma_f16 v27, v27, 2.0, -v75
	v_fma_f16 v45, v45, 2.0, -v33
	;; [unrolled: 1-line block ×4, first 2 shown]
	v_fmac_f16_e32 v77, 0x39a8, v51
	v_fmac_f16_e32 v78, 0xb9a8, v73
	v_fmamk_f16 v51, v30, 0x39a8, v34
	v_fmamk_f16 v73, v74, 0x39a8, v32
	v_sub_f16_e32 v76, v27, v76
	v_sub_f16_e32 v46, v45, v46
	v_add_f16_e32 v47, v75, v47
	v_sub_f16_e32 v28, v33, v28
	v_fmac_f16_e32 v51, 0x39a8, v74
	v_fmac_f16_e32 v73, 0xb9a8, v30
	v_fma_f16 v27, v27, 2.0, -v76
	v_fma_f16 v45, v45, 2.0, -v46
	;; [unrolled: 1-line block ×8, first 2 shown]
	v_pack_b32_f16 v27, v27, v45
	v_pack_b32_f16 v29, v29, v30
	;; [unrolled: 1-line block ×8, first 2 shown]
	global_wb scope:SCOPE_SE
	s_barrier_signal -1
	s_barrier_wait -1
	global_inv scope:SCOPE_SE
	ds_store_2addr_stride64_b32 v59, v27, v29 offset1:1
	ds_store_2addr_stride64_b32 v59, v30, v31 offset0:2 offset1:3
	ds_store_2addr_stride64_b32 v59, v32, v33 offset0:4 offset1:5
	;; [unrolled: 1-line block ×3, first 2 shown]
	s_and_saveexec_b32 s1, s0
	s_cbranch_execz .LBB0_23
; %bb.22:
	v_mul_f16_e32 v31, v56, v23
	v_mul_f16_e32 v30, v55, v9
	;; [unrolled: 1-line block ×5, first 2 shown]
	v_fma_f16 v31, v5, v38, -v31
	v_mul_f16_e32 v38, v56, v38
	v_mul_f16_e32 v33, v58, v72
	v_fma_f16 v30, v1, v50, -v30
	v_fmac_f16_e32 v32, v3, v26
	v_mul_f16_e32 v26, v57, v26
	v_mul_f16_e32 v45, v58, v71
	v_fmac_f16_e32 v46, v1, v9
	v_fmac_f16_e32 v38, v5, v23
	v_mul_f16_e32 v1, v54, v35
	v_mul_f16_e32 v5, v52, v44
	;; [unrolled: 1-line block ×5, first 2 shown]
	v_fmac_f16_e32 v29, v4, v35
	v_fmac_f16_e32 v33, v7, v71
	v_fma_f16 v3, v3, v49, -v26
	v_fma_f16 v7, v7, v72, -v45
	;; [unrolled: 1-line block ×3, first 2 shown]
	v_fmac_f16_e32 v5, v2, v25
	v_fmac_f16_e32 v9, v6, v24
	v_fma_f16 v27, v2, v44, -v27
	v_fma_f16 v28, v6, v37, -v28
	v_sub_f16_e32 v29, v8, v29
	v_sub_f16_e32 v7, v3, v7
	;; [unrolled: 1-line block ×9, first 2 shown]
	v_fma_f16 v8, v8, 2.0, -v29
	v_sub_f16_e32 v26, v1, v9
	v_fma_f16 v5, v5, 2.0, -v9
	v_fma_f16 v9, v30, 2.0, -v2
	;; [unrolled: 1-line block ×3, first 2 shown]
	v_add_f16_e32 v34, v28, v29
	v_add_f16_e32 v6, v7, v23
	v_fmamk_f16 v7, v24, 0x39a8, v26
	v_sub_f16_e32 v5, v8, v5
	v_sub_f16_e32 v3, v9, v3
	v_fma_f16 v10, v10, 2.0, -v1
	v_fma_f16 v27, v27, 2.0, -v28
	;; [unrolled: 1-line block ×4, first 2 shown]
	v_fmamk_f16 v25, v6, 0x39a8, v34
	v_fmac_f16_e32 v7, 0xb9a8, v6
	v_add_f16_e32 v31, v5, v3
	v_fma_f16 v29, v29, 2.0, -v34
	v_fma_f16 v6, v23, 2.0, -v6
	v_sub_f16_e32 v27, v10, v27
	v_sub_f16_e32 v4, v28, v4
	v_fma_f16 v2, v2, 2.0, -v24
	v_fma_f16 v1, v1, 2.0, -v26
	v_fmac_f16_e32 v25, 0x39a8, v24
	v_fma_f16 v23, v5, 2.0, -v31
	v_fmamk_f16 v24, v6, 0xb9a8, v29
	v_fma_f16 v5, v8, 2.0, -v5
	v_fma_f16 v8, v28, 2.0, -v4
	;; [unrolled: 1-line block ×4, first 2 shown]
	v_fmamk_f16 v9, v2, 0xb9a8, v1
	v_fmac_f16_e32 v24, 0x39a8, v2
	v_sub_f16_e32 v2, v5, v8
	v_sub_f16_e32 v4, v27, v4
	;; [unrolled: 1-line block ×3, first 2 shown]
	v_fmac_f16_e32 v9, 0xb9a8, v6
	v_fma_f16 v6, v29, 2.0, -v24
	v_fma_f16 v5, v5, 2.0, -v2
	v_and_or_b32 v8, 0x1e00, v48, v43
	v_fma_f16 v10, v10, 2.0, -v3
	v_fma_f16 v1, v1, 2.0, -v9
	;; [unrolled: 1-line block ×5, first 2 shown]
	v_lshlrev_b32_e32 v8, 2, v8
	v_pack_b32_f16 v5, v5, v10
	v_pack_b32_f16 v1, v6, v1
	;; [unrolled: 1-line block ×8, first 2 shown]
	ds_store_2addr_stride64_b32 v8, v5, v1 offset1:1
	ds_store_2addr_stride64_b32 v8, v6, v10 offset0:2 offset1:3
	ds_store_2addr_stride64_b32 v8, v2, v3 offset0:4 offset1:5
	;; [unrolled: 1-line block ×3, first 2 shown]
.LBB0_23:
	s_wait_alu 0xfffe
	s_or_b32 exec_lo, exec_lo, s1
	global_wb scope:SCOPE_SE
	s_wait_dscnt 0x0
	s_barrier_signal -1
	s_barrier_wait -1
	global_inv scope:SCOPE_SE
	ds_load_2addr_stride64_b32 v[1:2], v39 offset1:8
	ds_load_2addr_stride64_b32 v[3:4], v39 offset0:32 offset1:48
	ds_load_2addr_stride64_b32 v[5:6], v39 offset0:64 offset1:72
	ds_load_b32 v9, v42
	ds_load_2addr_stride64_b32 v[7:8], v39 offset0:16 offset1:24
	ds_load_b32 v10, v39 offset:20480
	ds_load_b32 v23, v41
	ds_load_b32 v24, v40
	global_wb scope:SCOPE_SE
	s_wait_dscnt 0x0
	s_barrier_signal -1
	s_barrier_wait -1
	global_inv scope:SCOPE_SE
	v_lshrrev_b32_e32 v25, 16, v1
	v_lshrrev_b32_e32 v26, 16, v3
	;; [unrolled: 1-line block ×4, first 2 shown]
	v_mul_f16_e32 v36, v70, v3
	v_lshrrev_b32_e32 v30, 16, v6
	v_mul_f16_e32 v38, v70, v26
	v_mul_f16_e32 v43, v69, v27
	v_mul_f16_e32 v44, v69, v5
	v_fma_f16 v26, v21, v26, -v36
	v_mul_f16_e32 v36, v70, v29
	v_lshrrev_b32_e32 v32, 16, v4
	v_fmac_f16_e32 v38, v21, v3
	v_fmac_f16_e32 v43, v22, v5
	v_mul_f16_e32 v3, v70, v9
	v_fma_f16 v5, v22, v27, -v44
	v_mul_f16_e32 v27, v69, v30
	v_lshrrev_b32_e32 v33, 16, v10
	v_fmac_f16_e32 v36, v21, v9
	v_mul_f16_e32 v9, v69, v6
	v_lshrrev_b32_e32 v35, 16, v24
	v_fma_f16 v3, v21, v29, -v3
	v_mul_f16_e32 v29, v70, v32
	v_fmac_f16_e32 v27, v22, v6
	v_mul_f16_e32 v6, v70, v4
	v_fma_f16 v9, v22, v30, -v9
	v_mul_f16_e32 v30, v69, v33
	v_lshrrev_b32_e32 v37, 16, v23
	v_fmac_f16_e32 v29, v21, v4
	v_mul_f16_e32 v4, v69, v10
	v_fma_f16 v6, v21, v32, -v6
	v_mul_f16_e32 v32, v70, v35
	v_fmac_f16_e32 v30, v22, v10
	v_mul_f16_e32 v10, v70, v24
	v_fma_f16 v4, v22, v33, -v4
	v_mul_f16_e32 v33, v69, v37
	v_fmac_f16_e32 v32, v21, v24
	v_mul_f16_e32 v24, v69, v23
	v_fma_f16 v10, v21, v35, -v10
	v_add_f16_e32 v21, v38, v43
	v_fmac_f16_e32 v33, v22, v23
	v_add_f16_e32 v23, v1, v38
	v_fma_f16 v22, v22, v37, -v24
	v_add_f16_e32 v24, v26, v5
	v_fma_f16 v1, -0.5, v21, v1
	v_sub_f16_e32 v21, v26, v5
	v_add_f16_e32 v26, v25, v26
	v_lshrrev_b32_e32 v28, 16, v2
	v_fmac_f16_e32 v25, -0.5, v24
	v_sub_f16_e32 v24, v38, v43
	v_fmamk_f16 v35, v21, 0xbaee, v1
	v_fmac_f16_e32 v1, 0x3aee, v21
	v_add_f16_e32 v21, v36, v27
	v_add_f16_e32 v5, v26, v5
	v_fmamk_f16 v26, v24, 0x3aee, v25
	v_fmac_f16_e32 v25, 0xbaee, v24
	v_add_f16_e32 v24, v3, v9
	v_add_f16_e32 v37, v2, v36
	v_fmac_f16_e32 v2, -0.5, v21
	v_sub_f16_e32 v21, v3, v9
	v_add_f16_e32 v3, v28, v3
	v_fmac_f16_e32 v28, -0.5, v24
	v_sub_f16_e32 v24, v36, v27
	v_lshrrev_b32_e32 v31, 16, v7
	v_add_f16_e32 v37, v37, v27
	v_add_f16_e32 v3, v3, v9
	;; [unrolled: 1-line block ×3, first 2 shown]
	v_fmamk_f16 v27, v21, 0xbaee, v2
	v_fmac_f16_e32 v2, 0x3aee, v21
	v_fmamk_f16 v21, v24, 0x3aee, v28
	v_fmac_f16_e32 v28, 0xbaee, v24
	v_add_f16_e32 v24, v6, v4
	v_add_f16_e32 v36, v7, v29
	v_fma_f16 v7, -0.5, v9, v7
	v_sub_f16_e32 v9, v6, v4
	v_add_f16_e32 v6, v31, v6
	v_fmac_f16_e32 v31, -0.5, v24
	v_sub_f16_e32 v24, v29, v30
	v_lshrrev_b32_e32 v34, 16, v8
	v_fmamk_f16 v29, v9, 0xbaee, v7
	v_add_f16_e32 v4, v6, v4
	v_add_f16_e32 v6, v32, v33
	v_fmac_f16_e32 v7, 0x3aee, v9
	v_fmamk_f16 v9, v24, 0x3aee, v31
	v_fmac_f16_e32 v31, 0xbaee, v24
	v_add_f16_e32 v24, v10, v22
	v_add_f16_e32 v23, v23, v43
	v_add_f16_e32 v36, v36, v30
	v_add_f16_e32 v30, v8, v32
	v_fmac_f16_e32 v8, -0.5, v6
	v_sub_f16_e32 v6, v10, v22
	v_add_f16_e32 v10, v34, v10
	v_fmac_f16_e32 v34, -0.5, v24
	v_sub_f16_e32 v24, v32, v33
	v_pack_b32_f16 v5, v23, v5
	v_fmamk_f16 v32, v6, 0xbaee, v8
	v_fmac_f16_e32 v8, 0x3aee, v6
	v_add_f16_e32 v6, v10, v22
	v_pack_b32_f16 v22, v35, v26
	v_pack_b32_f16 v1, v1, v25
	;; [unrolled: 1-line block ×3, first 2 shown]
	v_add_f16_e32 v30, v30, v33
	v_pack_b32_f16 v21, v27, v21
	v_pack_b32_f16 v4, v36, v4
	v_fmamk_f16 v10, v24, 0x3aee, v34
	v_fmac_f16_e32 v34, 0xbaee, v24
	ds_store_2addr_stride64_b32 v39, v5, v22 offset1:8
	ds_store_2addr_stride64_b32 v39, v1, v3 offset0:16 offset1:24
	v_pack_b32_f16 v1, v2, v28
	v_pack_b32_f16 v2, v29, v9
	ds_store_2addr_stride64_b32 v39, v21, v4 offset0:32 offset1:48
	v_pack_b32_f16 v3, v7, v31
	v_pack_b32_f16 v4, v30, v6
	;; [unrolled: 1-line block ×4, first 2 shown]
	ds_store_b32 v42, v1
	ds_store_b32 v40, v2
	ds_store_2addr_stride64_b32 v39, v3, v4 offset0:64 offset1:72
	ds_store_b32 v39, v5 offset:20480
	ds_store_b32 v41, v6
	global_wb scope:SCOPE_SE
	s_wait_dscnt 0x0
	s_barrier_signal -1
	s_barrier_wait -1
	global_inv scope:SCOPE_SE
	ds_load_2addr_stride64_b32 v[1:2], v39 offset1:8
	ds_load_2addr_stride64_b32 v[3:4], v39 offset0:16 offset1:24
	ds_load_2addr_stride64_b32 v[5:6], v39 offset0:32 offset1:48
	;; [unrolled: 1-line block ×3, first 2 shown]
	ds_load_b32 v9, v40
	ds_load_b32 v10, v39 offset:20480
	ds_load_b32 v21, v42
	ds_load_b32 v22, v41
	s_wait_dscnt 0x7
	v_lshrrev_b32_e32 v23, 16, v1
	s_wait_dscnt 0x6
	v_lshrrev_b32_e32 v24, 16, v4
	;; [unrolled: 2-line block ×5, first 2 shown]
	v_mul_f16_e32 v38, v67, v6
	v_mul_f16_e32 v34, v68, v24
	;; [unrolled: 1-line block ×3, first 2 shown]
	v_lshrrev_b32_e32 v28, 16, v5
	s_wait_dscnt 0x2
	v_lshrrev_b32_e32 v30, 16, v10
	v_mul_f16_e32 v36, v68, v4
	v_fmac_f16_e32 v34, v17, v4
	v_mul_f16_e32 v4, v66, v26
	v_fmac_f16_e32 v37, v18, v6
	v_fma_f16 v6, v18, v25, -v38
	v_mul_f16_e32 v18, v66, v8
	v_mul_f16_e32 v25, v64, v29
	s_wait_dscnt 0x1
	v_lshrrev_b32_e32 v32, 16, v21
	v_lshrrev_b32_e32 v33, 16, v7
	v_fma_f16 v17, v17, v24, -v36
	v_fmac_f16_e32 v4, v19, v8
	v_mul_f16_e32 v8, v65, v28
	v_mul_f16_e32 v24, v65, v5
	v_fma_f16 v18, v19, v26, -v18
	v_mul_f16_e32 v19, v64, v9
	v_fmac_f16_e32 v25, v15, v9
	v_mul_f16_e32 v9, v63, v30
	s_wait_dscnt 0x0
	v_lshrrev_b32_e32 v35, 16, v22
	v_fmac_f16_e32 v8, v14, v5
	v_fma_f16 v5, v14, v28, -v24
	v_fma_f16 v14, v15, v29, -v19
	v_mul_f16_e32 v15, v63, v10
	v_mul_f16_e32 v19, v62, v32
	;; [unrolled: 1-line block ×3, first 2 shown]
	v_fmac_f16_e32 v9, v16, v10
	v_mul_f16_e32 v10, v61, v33
	v_sub_f16_e32 v6, v23, v6
	v_sub_f16_e32 v18, v17, v18
	v_lshrrev_b32_e32 v27, 16, v2
	v_fma_f16 v15, v16, v30, -v15
	v_fmac_f16_e32 v19, v11, v21
	v_fma_f16 v11, v11, v32, -v24
	v_sub_f16_e32 v16, v1, v37
	v_fmac_f16_e32 v10, v12, v7
	v_mul_f16_e32 v7, v61, v7
	v_mul_f16_e32 v24, v60, v35
	;; [unrolled: 1-line block ×3, first 2 shown]
	v_fma_f16 v23, v23, 2.0, -v6
	v_fma_f16 v17, v17, 2.0, -v18
	v_lshrrev_b32_e32 v31, 16, v3
	v_sub_f16_e32 v4, v34, v4
	v_fma_f16 v7, v12, v33, -v7
	v_fmac_f16_e32 v24, v13, v22
	v_fma_f16 v12, v13, v35, -v26
	v_sub_f16_e32 v13, v23, v17
	v_add_f16_e32 v17, v16, v18
	v_sub_f16_e32 v18, v2, v25
	v_sub_f16_e32 v14, v27, v14
	;; [unrolled: 1-line block ×4, first 2 shown]
	v_fma_f16 v1, v1, 2.0, -v16
	v_fma_f16 v21, v34, 2.0, -v4
	;; [unrolled: 1-line block ×6, first 2 shown]
	v_sub_f16_e32 v10, v3, v10
	v_sub_f16_e32 v7, v31, v7
	;; [unrolled: 1-line block ×7, first 2 shown]
	v_fma_f16 v3, v3, 2.0, -v10
	v_fma_f16 v25, v31, 2.0, -v7
	;; [unrolled: 1-line block ×4, first 2 shown]
	v_add_f16_e32 v15, v18, v15
	v_sub_f16_e32 v9, v14, v9
	v_fma_f16 v1, v1, 2.0, -v21
	v_sub_f16_e32 v4, v6, v4
	v_fma_f16 v23, v23, 2.0, -v13
	v_fma_f16 v2, v2, 2.0, -v8
	v_fma_f16 v22, v22, 2.0, -v5
	v_sub_f16_e32 v19, v3, v19
	v_sub_f16_e32 v11, v25, v11
	v_fma_f16 v18, v18, 2.0, -v15
	v_fma_f16 v14, v14, 2.0, -v9
	v_add_f16_e32 v12, v10, v12
	v_sub_f16_e32 v24, v7, v24
	v_fma_f16 v16, v16, 2.0, -v17
	v_fma_f16 v6, v6, 2.0, -v4
	;; [unrolled: 1-line block ×4, first 2 shown]
	v_pack_b32_f16 v1, v1, v23
	v_pack_b32_f16 v2, v2, v22
	;; [unrolled: 1-line block ×4, first 2 shown]
	v_fma_f16 v10, v10, 2.0, -v12
	v_fma_f16 v7, v7, 2.0, -v24
	v_pack_b32_f16 v6, v16, v6
	ds_store_2addr_stride64_b32 v39, v1, v2 offset1:8
	ds_store_2addr_stride64_b32 v39, v14, v13 offset0:32 offset1:48
	v_pack_b32_f16 v1, v3, v25
	v_pack_b32_f16 v2, v8, v5
	;; [unrolled: 1-line block ×6, first 2 shown]
	ds_store_2addr_stride64_b32 v39, v1, v6 offset0:16 offset1:24
	v_pack_b32_f16 v1, v12, v24
	ds_store_b32 v40, v2
	ds_store_b32 v42, v5
	ds_store_2addr_stride64_b32 v39, v7, v4 offset0:64 offset1:72
	ds_store_b32 v39, v3 offset:20480
	ds_store_b32 v41, v1
	global_wb scope:SCOPE_SE
	s_wait_dscnt 0x0
	s_barrier_signal -1
	s_barrier_wait -1
	global_inv scope:SCOPE_SE
	s_and_b32 exec_lo, exec_lo, vcc_lo
	s_cbranch_execz .LBB0_25
; %bb.24:
	s_clause 0x6
	global_load_b32 v3, v39, s[20:21]
	global_load_b32 v4, v39, s[20:21] offset:1536
	global_load_b32 v9, v39, s[20:21] offset:3072
	;; [unrolled: 1-line block ×6, first 2 shown]
	ds_load_2addr_stride64_b32 v[14:15], v39 offset1:6
	ds_load_2addr_stride64_b32 v[16:17], v39 offset0:12 offset1:18
	v_mad_co_u64_u32 v[12:13], null, s6, v20, 0
	v_mad_co_u64_u32 v[18:19], null, s4, v0, 0
	ds_load_2addr_stride64_b32 v[21:22], v39 offset0:24 offset1:30
	ds_load_2addr_stride64_b32 v[1:2], v39 offset0:36 offset1:42
	s_mov_b32 s24, 0x55555555
	s_mov_b32 s25, 0x3f255555
	s_mul_u64 s[22:23], s[4:5], 0x600
	s_clause 0x3
	global_load_b32 v5, v39, s[20:21] offset:10752
	global_load_b32 v8, v39, s[20:21] offset:12288
	global_load_b32 v6, v39, s[20:21] offset:13824
	global_load_b32 v7, v39, s[20:21] offset:15360
	s_wait_dscnt 0x3
	v_mad_co_u64_u32 v[23:24], null, s7, v20, v[13:14]
	v_mad_co_u64_u32 v[19:20], null, s5, v0, v[19:20]
	v_lshrrev_b32_e32 v0, 16, v14
	v_lshrrev_b32_e32 v20, 16, v15
	s_wait_dscnt 0x2
	v_lshrrev_b32_e32 v25, 16, v16
	v_lshrrev_b32_e32 v28, 16, v17
	v_mov_b32_e32 v13, v23
	s_wait_dscnt 0x1
	v_lshrrev_b32_e32 v29, 16, v21
	v_lshrrev_b32_e32 v30, 16, v22
	s_wait_dscnt 0x0
	v_lshrrev_b32_e32 v43, 16, v1
	s_wait_loadcnt 0xa
	v_lshrrev_b32_e32 v23, 16, v3
	s_wait_loadcnt 0x9
	;; [unrolled: 2-line block ×5, first 2 shown]
	v_lshrrev_b32_e32 v32, 16, v11
	v_mul_f16_e32 v34, v0, v23
	v_mul_f16_e32 v23, v14, v23
	;; [unrolled: 1-line block ×5, first 2 shown]
	v_fmac_f16_e32 v34, v14, v3
	v_fma_f16 v0, v3, v0, -v23
	v_fmac_f16_e32 v35, v15, v4
	v_fma_f16 v20, v4, v20, -v24
	v_mul_f16_e32 v26, v16, v26
	v_cvt_f32_f16_e32 v3, v34
	v_cvt_f32_f16_e32 v0, v0
	;; [unrolled: 1-line block ×3, first 2 shown]
	v_mul_f16_e32 v37, v28, v31
	v_fmac_f16_e32 v36, v16, v9
	v_cvt_f64_f32_e32 v[3:4], v3
	v_cvt_f64_f32_e32 v[14:15], v0
	v_cvt_f32_f16_e32 v16, v20
	v_cvt_f64_f32_e32 v[23:24], v23
	v_mul_f16_e32 v31, v17, v31
	v_cvt_f32_f16_e32 v20, v36
	v_fma_f16 v9, v9, v25, -v26
	v_fmac_f16_e32 v37, v17, v10
	v_cvt_f64_f32_e32 v[16:17], v16
	s_wait_loadcnt 0x5
	v_lshrrev_b32_e32 v33, 16, v27
	v_cvt_f64_f32_e32 v[25:26], v20
	v_cvt_f32_f16_e32 v9, v9
	v_mul_f16_e32 v34, v29, v32
	v_mul_f16_e32 v0, v21, v32
	v_cvt_f32_f16_e32 v20, v37
	v_fma_f16 v28, v10, v28, -v31
	v_cvt_f64_f32_e32 v[9:10], v9
	v_mul_f16_e32 v32, v30, v33
	v_mul_f16_e32 v33, v22, v33
	v_fmac_f16_e32 v34, v21, v11
	v_fma_f16 v0, v11, v29, -v0
	v_cvt_f64_f32_e32 v[20:21], v20
	v_cvt_f32_f16_e32 v11, v28
	v_fmac_f16_e32 v32, v22, v27
	v_fma_f16 v22, v27, v30, -v33
	v_cvt_f32_f16_e32 v29, v34
	s_wait_loadcnt 0x4
	v_lshrrev_b32_e32 v44, 16, v42
	v_cvt_f64_f32_e32 v[27:28], v11
	v_cvt_f32_f16_e32 v0, v0
	v_lshlrev_b64_e32 v[11:12], 2, v[12:13]
	v_cvt_f64_f32_e32 v[29:30], v29
	v_mul_f16_e32 v35, v43, v44
	v_cvt_f32_f16_e32 v33, v32
	v_cvt_f64_f32_e32 v[31:32], v0
	v_cvt_f32_f16_e32 v22, v22
	v_add_co_u32 v0, vcc_lo, s8, v11
	v_fmac_f16_e32 v35, v1, v42
	v_mul_f64_e32 v[40:41], s[24:25], v[3:4]
	v_mul_f64_e32 v[13:14], s[24:25], v[14:15]
	v_lshlrev_b64_e32 v[3:4], 2, v[18:19]
	v_add_co_ci_u32_e32 v15, vcc_lo, s9, v12, vcc_lo
	v_mul_f64_e32 v[11:12], s[24:25], v[23:24]
	v_cvt_f64_f32_e32 v[33:34], v33
	v_cvt_f32_f16_e32 v37, v35
	v_add_co_u32 v18, vcc_lo, v0, v3
	s_wait_alu 0xfffd
	v_add_co_ci_u32_e32 v19, vcc_lo, v15, v4, vcc_lo
	v_mul_f64_e32 v[15:16], s[24:25], v[16:17]
	v_cvt_f64_f32_e32 v[35:36], v22
	v_mul_f64_e32 v[22:23], s[24:25], v[25:26]
	v_mul_f16_e32 v0, v1, v44
	v_mul_f64_e32 v[9:10], s[24:25], v[9:10]
	v_add_co_u32 v24, vcc_lo, v18, s22
	s_wait_alu 0xfffd
	v_add_co_ci_u32_e32 v25, vcc_lo, s23, v19, vcc_lo
	v_mul_f64_e32 v[20:21], s[24:25], v[20:21]
	v_fma_f16 v0, v42, v43, -v0
	v_add_co_u32 v42, vcc_lo, v24, s22
	s_wait_alu 0xfffd
	v_add_co_ci_u32_e32 v43, vcc_lo, s23, v25, vcc_lo
	v_mul_f64_e32 v[26:27], s[24:25], v[27:28]
	s_delay_alu instid0(VALU_DEP_3)
	v_add_co_u32 v44, vcc_lo, v42, s22
	v_mul_f64_e32 v[28:29], s[24:25], v[29:30]
	s_wait_alu 0xfffd
	v_add_co_ci_u32_e32 v45, vcc_lo, s23, v43, vcc_lo
	v_mul_f64_e32 v[30:31], s[24:25], v[31:32]
	v_cvt_f64_f32_e32 v[37:38], v37
	v_cvt_f32_f16_e32 v0, v0
	v_and_or_b32 v17, 0x1ff, v41, v40
	v_and_or_b32 v13, 0x1ff, v14, v13
	s_delay_alu instid0(VALU_DEP_3) | instskip(SKIP_1) | instid1(VALU_DEP_4)
	v_cvt_f64_f32_e32 v[46:47], v0
	v_and_or_b32 v11, 0x1ff, v12, v11
	v_cmp_ne_u32_e32 vcc_lo, 0, v17
	v_mul_f64_e32 v[32:33], s[24:25], v[33:34]
	v_lshrrev_b32_e32 v34, 8, v41
	v_lshrrev_b32_e32 v40, 8, v12
	s_wait_alu 0xfffd
	v_cndmask_b32_e64 v17, 0, 1, vcc_lo
	v_cmp_ne_u32_e32 vcc_lo, 0, v13
	v_and_or_b32 v15, 0x1ff, v16, v15
	v_mul_f64_e32 v[3:4], s[24:25], v[35:36]
	v_and_or_b32 v22, 0x1ff, v23, v22
	v_and_or_b32 v9, 0x1ff, v10, v9
	s_wait_alu 0xfffd
	v_cndmask_b32_e64 v13, 0, 1, vcc_lo
	v_cmp_ne_u32_e32 vcc_lo, 0, v11
	v_bfe_u32 v35, v41, 20, 11
	v_and_or_b32 v17, 0xffe, v34, v17
	v_and_or_b32 v20, 0x1ff, v21, v20
	v_lshrrev_b32_e32 v36, 16, v41
	s_wait_alu 0xfffd
	v_cndmask_b32_e64 v11, 0, 1, vcc_lo
	v_cmp_ne_u32_e32 vcc_lo, 0, v15
	v_bfe_u32 v41, v12, 20, 11
	v_bfe_u32 v49, v16, 20, 11
	v_and_or_b32 v26, 0x1ff, v27, v26
	v_sub_nc_u32_e32 v65, 0x3f1, v35
	s_wait_alu 0xfffd
	v_cndmask_b32_e64 v15, 0, 1, vcc_lo
	v_cmp_ne_u32_e32 vcc_lo, 0, v22
	v_and_or_b32 v28, 0x1ff, v29, v28
	v_add_nc_u32_e32 v35, 0xfffffc10, v35
	v_and_or_b32 v30, 0x1ff, v31, v30
	v_mul_f64_e32 v[0:1], s[24:25], v[37:38]
	s_wait_alu 0xfffd
	v_cndmask_b32_e64 v22, 0, 1, vcc_lo
	v_cmp_ne_u32_e32 vcc_lo, 0, v9
	v_lshrrev_b32_e32 v37, 8, v14
	v_bfe_u32 v38, v14, 20, 11
	v_lshrrev_b32_e32 v48, 8, v16
	v_bfe_u32 v51, v23, 20, 11
	s_wait_alu 0xfffd
	v_cndmask_b32_e64 v9, 0, 1, vcc_lo
	v_cmp_ne_u32_e32 vcc_lo, 0, v20
	v_sub_nc_u32_e32 v66, 0x3f1, v38
	v_and_or_b32 v13, 0xffe, v37, v13
	v_and_or_b32 v32, 0x1ff, v33, v32
	v_bfe_u32 v53, v10, 20, 11
	s_wait_alu 0xfffd
	v_cndmask_b32_e64 v20, 0, 1, vcc_lo
	v_cmp_ne_u32_e32 vcc_lo, 0, v26
	v_add_nc_u32_e32 v38, 0xfffffc10, v38
	v_sub_nc_u32_e32 v67, 0x3f1, v41
	v_sub_nc_u32_e32 v68, 0x3f1, v49
	v_and_or_b32 v3, 0x1ff, v4, v3
	s_wait_alu 0xfffd
	v_cndmask_b32_e64 v26, 0, 1, vcc_lo
	v_cmp_ne_u32_e32 vcc_lo, 0, v28
	v_med3_i32 v34, v65, 0, 13
	v_med3_i32 v37, v66, 0, 13
	v_and_or_b32 v11, 0xffe, v40, v11
	v_or_b32_e32 v65, 0x1000, v17
	s_wait_alu 0xfffd
	v_cndmask_b32_e64 v28, 0, 1, vcc_lo
	v_cmp_ne_u32_e32 vcc_lo, 0, v30
	v_lshl_or_b32 v66, v35, 12, v17
	v_lshrrev_b32_e32 v50, 8, v23
	v_lshrrev_b32_e32 v52, 8, v10
	v_bfe_u32 v55, v21, 20, 11
	s_wait_alu 0xfffd
	v_cndmask_b32_e64 v30, 0, 1, vcc_lo
	v_cmp_ne_u32_e32 vcc_lo, 0, v32
	v_bfe_u32 v57, v27, 20, 11
	v_add_nc_u32_e32 v41, 0xfffffc10, v41
	v_sub_nc_u32_e32 v69, 0x3f1, v51
	v_sub_nc_u32_e32 v70, 0x3f1, v53
	s_wait_alu 0xfffd
	v_cndmask_b32_e64 v32, 0, 1, vcc_lo
	v_cmp_ne_u32_e32 vcc_lo, 0, v3
	v_med3_i32 v40, v67, 0, 13
	v_and_or_b32 v15, 0xffe, v48, v15
	v_med3_i32 v48, v68, 0, 13
	v_or_b32_e32 v67, 0x1000, v13
	s_wait_alu 0xfffd
	v_cndmask_b32_e64 v3, 0, 1, vcc_lo
	v_cmp_ne_u32_e32 vcc_lo, 0, v17
	v_lshl_or_b32 v68, v38, 12, v13
	v_lshrrev_b32_e32 v54, 8, v21
	v_lshrrev_b32_e32 v56, 8, v27
	v_bfe_u32 v59, v29, 20, 11
	s_wait_alu 0xfffd
	v_cndmask_b32_e64 v17, 0, 1, vcc_lo
	v_cmp_ne_u32_e32 vcc_lo, 0, v13
	v_bfe_u32 v61, v31, 20, 11
	v_add_nc_u32_e32 v49, 0xfffffc10, v49
	v_sub_nc_u32_e32 v71, 0x3f1, v55
	v_sub_nc_u32_e32 v72, 0x3f1, v57
	s_wait_alu 0xfffd
	v_cndmask_b32_e64 v13, 0, 1, vcc_lo
	v_cmp_ne_u32_e32 vcc_lo, 0, v11
	v_and_or_b32 v22, 0xffe, v50, v22
	v_med3_i32 v50, v69, 0, 13
	v_and_or_b32 v9, 0xffe, v52, v9
	v_med3_i32 v52, v70, 0, 13
	v_or_b32_e32 v69, 0x1000, v11
	v_lshl_or_b32 v70, v41, 12, v11
	s_wait_alu 0xfffd
	v_cndmask_b32_e64 v11, 0, 1, vcc_lo
	v_cmp_ne_u32_e32 vcc_lo, 0, v15
	v_lshrrev_b32_e32 v58, 8, v29
	v_lshrrev_b32_e32 v60, 8, v31
	v_bfe_u32 v63, v33, 20, 11
	v_add_nc_u32_e32 v51, 0xfffffc10, v51
	v_sub_nc_u32_e32 v73, 0x3f1, v59
	v_sub_nc_u32_e32 v74, 0x3f1, v61
	v_and_or_b32 v20, 0xffe, v54, v20
	v_med3_i32 v54, v71, 0, 13
	v_and_or_b32 v26, 0xffe, v56, v26
	v_med3_i32 v56, v72, 0, 13
	v_or_b32_e32 v71, 0x1000, v15
	v_lshl_or_b32 v72, v49, 12, v15
	s_wait_alu 0xfffd
	v_cndmask_b32_e64 v15, 0, 1, vcc_lo
	v_cmp_ne_u32_e32 vcc_lo, 0, v22
	v_lshrrev_b32_e32 v62, 8, v33
	v_add_nc_u32_e32 v53, 0xfffffc10, v53
	v_sub_nc_u32_e32 v75, 0x3f1, v63
	v_and_or_b32 v28, 0xffe, v58, v28
	v_med3_i32 v58, v73, 0, 13
	v_and_or_b32 v30, 0xffe, v60, v30
	v_med3_i32 v60, v74, 0, 13
	v_or_b32_e32 v73, 0x1000, v22
	v_lshl_or_b32 v74, v51, 12, v22
	s_wait_alu 0xfffd
	v_cndmask_b32_e64 v22, 0, 1, vcc_lo
	v_cmp_ne_u32_e32 vcc_lo, 0, v9
	v_add_nc_u32_e32 v55, 0xfffffc10, v55
	v_and_or_b32 v32, 0xffe, v62, v32
	v_med3_i32 v62, v75, 0, 13
	v_or_b32_e32 v75, 0x1000, v9
	v_lshl_or_b32 v76, v53, 12, v9
	s_wait_alu 0xfffd
	v_cndmask_b32_e64 v9, 0, 1, vcc_lo
	v_cmp_ne_u32_e32 vcc_lo, 0, v20
	v_add_nc_u32_e32 v57, 0xfffffc10, v57
	v_or_b32_e32 v77, 0x1000, v20
	v_lshl_or_b32 v78, v55, 12, v20
	v_add_nc_u32_e32 v59, 0xfffffc10, v59
	s_wait_alu 0xfffd
	v_cndmask_b32_e64 v20, 0, 1, vcc_lo
	v_cmp_ne_u32_e32 vcc_lo, 0, v26
	v_or_b32_e32 v79, 0x1000, v26
	v_lshl_or_b32 v80, v57, 12, v26
	v_lshrrev_b32_e32 v86, v34, v65
	v_add_nc_u32_e32 v61, 0xfffffc10, v61
	s_wait_alu 0xfffd
	v_cndmask_b32_e64 v26, 0, 1, vcc_lo
	v_cmp_ne_u32_e32 vcc_lo, 0, v28
	v_or_b32_e32 v81, 0x1000, v28
	v_lshl_or_b32 v82, v59, 12, v28
	v_lshrrev_b32_e32 v87, v37, v67
	v_lshlrev_b32_e32 v34, v34, v86
	s_wait_alu 0xfffd
	v_cndmask_b32_e64 v28, 0, 1, vcc_lo
	v_cmp_ne_u32_e32 vcc_lo, 0, v30
	v_or_b32_e32 v83, 0x1000, v30
	v_lshl_or_b32 v84, v61, 12, v30
	v_lshrrev_b32_e32 v88, v40, v69
	v_lshlrev_b32_e32 v37, v37, v87
	s_wait_alu 0xfffd
	v_cndmask_b32_e64 v30, 0, 1, vcc_lo
	v_cmp_ne_u32_e32 vcc_lo, v34, v65
	v_lshrrev_b32_e32 v89, v48, v71
	v_lshlrev_b32_e32 v40, v40, v88
	v_lshrrev_b32_e32 v90, v50, v73
	v_lshl_or_b32 v13, v13, 9, 0x7c00
	s_wait_alu 0xfffd
	v_cndmask_b32_e64 v34, 0, 1, vcc_lo
	v_cmp_ne_u32_e32 vcc_lo, v37, v67
	v_lshlrev_b32_e32 v48, v48, v89
	v_lshrrev_b32_e32 v91, v52, v75
	v_lshlrev_b32_e32 v50, v50, v90
	v_lshl_or_b32 v17, v17, 9, 0x7c00
	s_wait_alu 0xfffd
	v_cndmask_b32_e64 v37, 0, 1, vcc_lo
	v_cmp_ne_u32_e32 vcc_lo, v40, v69
	v_lshrrev_b32_e32 v92, v54, v77
	v_lshlrev_b32_e32 v52, v52, v91
	v_lshl_or_b32 v11, v11, 9, 0x7c00
	v_lshrrev_b32_e32 v93, v56, v79
	s_wait_alu 0xfffd
	v_cndmask_b32_e64 v40, 0, 1, vcc_lo
	v_cmp_ne_u32_e32 vcc_lo, v48, v71
	v_lshlrev_b32_e32 v54, v54, v92
	v_lshrrev_b32_e32 v94, v58, v81
	v_lshlrev_b32_e32 v56, v56, v93
	v_or_b32_e32 v85, 0x1000, v32
	s_wait_alu 0xfffd
	v_cndmask_b32_e64 v48, 0, 1, vcc_lo
	v_cmp_ne_u32_e32 vcc_lo, v50, v73
	v_lshl_or_b32 v15, v15, 9, 0x7c00
	v_lshrrev_b32_e32 v95, v60, v83
	v_lshlrev_b32_e32 v58, v58, v94
	v_lshrrev_b32_e32 v96, v62, v85
	s_wait_alu 0xfffd
	v_cndmask_b32_e64 v50, 0, 1, vcc_lo
	v_cmp_ne_u32_e32 vcc_lo, v52, v75
	v_lshlrev_b32_e32 v60, v60, v95
	v_lshl_or_b32 v9, v9, 9, 0x7c00
	v_lshlrev_b32_e32 v62, v62, v96
	v_or_b32_e32 v34, v86, v34
	s_wait_alu 0xfffd
	v_cndmask_b32_e64 v52, 0, 1, vcc_lo
	v_cmp_ne_u32_e32 vcc_lo, v54, v77
	v_or_b32_e32 v37, v87, v37
	v_or_b32_e32 v40, v88, v40
	;; [unrolled: 1-line block ×4, first 2 shown]
	s_wait_alu 0xfffd
	v_cndmask_b32_e64 v54, 0, 1, vcc_lo
	v_cmp_ne_u32_e32 vcc_lo, v56, v79
	v_or_b32_e32 v52, v91, v52
	v_lshl_or_b32 v22, v22, 9, 0x7c00
	v_lshrrev_b32_e32 v12, 16, v12
	v_or_b32_e32 v54, v92, v54
	s_wait_alu 0xfffd
	v_cndmask_b32_e64 v56, 0, 1, vcc_lo
	v_cmp_ne_u32_e32 vcc_lo, v58, v81
	v_lshl_or_b32 v20, v20, 9, 0x7c00
	v_lshrrev_b32_e32 v14, 16, v14
	v_lshrrev_b32_e32 v16, 16, v16
	v_or_b32_e32 v56, v93, v56
	s_wait_alu 0xfffd
	v_cndmask_b32_e64 v58, 0, 1, vcc_lo
	v_cmp_ne_u32_e32 vcc_lo, v60, v83
	v_lshl_or_b32 v26, v26, 9, 0x7c00
	v_lshrrev_b32_e32 v23, 16, v23
	v_lshrrev_b32_e32 v10, 16, v10
	v_or_b32_e32 v58, v94, v58
	s_wait_alu 0xfffd
	v_cndmask_b32_e64 v60, 0, 1, vcc_lo
	v_cmp_ne_u32_e32 vcc_lo, v62, v85
	v_lshrrev_b32_e32 v21, 16, v21
	v_lshrrev_b32_e32 v27, 16, v27
	v_lshl_or_b32 v28, v28, 9, 0x7c00
	v_or_b32_e32 v60, v95, v60
	s_wait_alu 0xfffd
	v_cndmask_b32_e64 v62, 0, 1, vcc_lo
	v_cmp_gt_i32_e32 vcc_lo, 1, v35
	v_lshrrev_b32_e32 v29, 16, v29
	v_lshrrev_b32_e32 v64, 8, v4
	v_lshl_or_b32 v30, v30, 9, 0x7c00
	v_lshrrev_b32_e32 v31, 16, v31
	s_wait_alu 0xfffd
	v_cndmask_b32_e32 v34, v66, v34, vcc_lo
	v_cmp_gt_i32_e32 vcc_lo, 1, v38
	v_and_or_b32 v3, 0xffe, v64, v3
	v_and_or_b32 v0, 0x1ff, v1, v0
	s_delay_alu instid0(VALU_DEP_4)
	v_and_b32_e32 v65, 7, v34
	s_wait_alu 0xfffd
	v_cndmask_b32_e32 v37, v68, v37, vcc_lo
	v_cmp_gt_i32_e32 vcc_lo, 1, v41
	v_lshrrev_b32_e32 v34, 2, v34
	v_cmp_eq_u32_e64 s0, 3, v65
	s_delay_alu instid0(VALU_DEP_4)
	v_and_b32_e32 v66, 7, v37
	s_wait_alu 0xfffd
	v_cndmask_b32_e32 v40, v70, v40, vcc_lo
	v_cmp_gt_i32_e32 vcc_lo, 1, v49
	v_lshrrev_b32_e32 v37, 2, v37
	v_cmp_lt_i32_e64 s1, 5, v66
	s_delay_alu instid0(VALU_DEP_4)
	v_and_b32_e32 v67, 7, v40
	s_wait_alu 0xfffd
	v_cndmask_b32_e32 v48, v72, v48, vcc_lo
	v_cmp_gt_i32_e32 vcc_lo, 1, v51
	v_cmp_eq_u32_e64 s2, 3, v66
	v_lshrrev_b32_e32 v40, 2, v40
	v_cmp_lt_i32_e64 s3, 5, v67
	v_and_b32_e32 v68, 7, v48
	s_wait_alu 0xfffd
	v_cndmask_b32_e32 v50, v74, v50, vcc_lo
	v_cmp_gt_i32_e32 vcc_lo, 1, v53
	v_cmp_eq_u32_e64 s4, 3, v67
	v_lshrrev_b32_e32 v48, 2, v48
	v_cmp_lt_i32_e64 s5, 5, v68
	v_cmp_eq_u32_e64 s6, 3, v68
	s_wait_alu 0xfffd
	v_cndmask_b32_e32 v52, v76, v52, vcc_lo
	v_cmp_gt_i32_e32 vcc_lo, 1, v55
	s_delay_alu instid0(VALU_DEP_2)
	v_and_b32_e32 v70, 7, v52
	s_wait_alu 0xfffd
	v_cndmask_b32_e32 v54, v78, v54, vcc_lo
	v_cmp_gt_i32_e32 vcc_lo, 1, v57
	v_lshrrev_b32_e32 v52, 2, v52
	v_cmp_lt_i32_e64 s9, 5, v70
	v_cmp_eq_u32_e64 s10, 3, v70
	s_wait_alu 0xfffd
	v_cndmask_b32_e32 v56, v80, v56, vcc_lo
	v_cmp_gt_i32_e32 vcc_lo, 1, v59
	s_delay_alu instid0(VALU_DEP_2)
	v_and_b32_e32 v72, 7, v56
	s_wait_alu 0xfffd
	v_cndmask_b32_e32 v58, v82, v58, vcc_lo
	v_cmp_gt_i32_e32 vcc_lo, 1, v61
	v_lshrrev_b32_e32 v56, 2, v56
	v_cmp_lt_i32_e64 s13, 5, v72
	v_cmp_eq_u32_e64 s14, 3, v72
	s_wait_alu 0xfffd
	v_cndmask_b32_e32 v60, v84, v60, vcc_lo
	v_cmp_lt_i32_e32 vcc_lo, 5, v65
	s_delay_alu instid0(VALU_DEP_2)
	v_and_b32_e32 v74, 7, v60
	s_or_b32 vcc_lo, s0, vcc_lo
	v_lshrrev_b32_e32 v60, 2, v60
	s_wait_alu 0xfffe
	v_add_co_ci_u32_e32 v34, vcc_lo, 0, v34, vcc_lo
	s_or_b32 vcc_lo, s2, s1
	v_cmp_lt_i32_e64 s17, 5, v74
	s_wait_alu 0xfffe
	v_add_co_ci_u32_e32 v37, vcc_lo, 0, v37, vcc_lo
	s_or_b32 vcc_lo, s4, s3
	v_cmp_eq_u32_e64 s18, 3, v74
	s_wait_alu 0xfffe
	v_add_co_ci_u32_e32 v40, vcc_lo, 0, v40, vcc_lo
	s_or_b32 vcc_lo, s6, s5
	s_wait_alu 0xfffe
	v_add_co_ci_u32_e32 v48, vcc_lo, 0, v48, vcc_lo
	v_and_b32_e32 v69, 7, v50
	v_lshrrev_b32_e32 v50, 2, v50
	s_delay_alu instid0(VALU_DEP_2) | instskip(SKIP_1) | instid1(VALU_DEP_1)
	v_cmp_lt_i32_e64 s7, 5, v69
	v_cmp_eq_u32_e64 s8, 3, v69
	s_or_b32 vcc_lo, s8, s7
	s_wait_alu 0xfffe
	v_add_co_ci_u32_e32 v50, vcc_lo, 0, v50, vcc_lo
	s_or_b32 vcc_lo, s10, s9
	s_wait_alu 0xfffe
	v_add_co_ci_u32_e32 v52, vcc_lo, 0, v52, vcc_lo
	v_and_b32_e32 v71, 7, v54
	v_lshrrev_b32_e32 v54, 2, v54
	s_delay_alu instid0(VALU_DEP_2) | instskip(SKIP_1) | instid1(VALU_DEP_1)
	v_cmp_lt_i32_e64 s11, 5, v71
	v_cmp_eq_u32_e64 s12, 3, v71
	s_or_b32 vcc_lo, s12, s11
	;; [unrolled: 11-line block ×3, first 2 shown]
	s_wait_alu 0xfffe
	v_add_co_ci_u32_e32 v58, vcc_lo, 0, v58, vcc_lo
	s_or_b32 vcc_lo, s18, s17
	s_wait_alu 0xfffe
	v_add_co_ci_u32_e32 v60, vcc_lo, 0, v60, vcc_lo
	v_cmp_gt_i32_e32 vcc_lo, 31, v35
	s_wait_alu 0xfffd
	v_cndmask_b32_e32 v34, 0x7c00, v34, vcc_lo
	v_cmp_gt_i32_e32 vcc_lo, 31, v38
	s_wait_alu 0xfffd
	v_cndmask_b32_e32 v37, 0x7c00, v37, vcc_lo
	;; [unrolled: 3-line block ×10, first 2 shown]
	v_cmp_eq_u32_e32 vcc_lo, 0x40f, v35
	s_wait_alu 0xfffd
	v_cndmask_b32_e32 v17, v34, v17, vcc_lo
	v_cmp_eq_u32_e32 vcc_lo, 0x40f, v38
	s_delay_alu instid0(VALU_DEP_2) | instskip(SKIP_3) | instid1(VALU_DEP_2)
	v_and_or_b32 v17, 0x8000, v36, v17
	s_wait_alu 0xfffd
	v_cndmask_b32_e32 v13, v37, v13, vcc_lo
	v_cmp_eq_u32_e32 vcc_lo, 0x40f, v41
	v_and_or_b32 v13, 0x8000, v14, v13
	s_wait_alu 0xfffd
	v_cndmask_b32_e32 v11, v40, v11, vcc_lo
	v_cmp_eq_u32_e32 vcc_lo, 0x40f, v49
	s_delay_alu instid0(VALU_DEP_2)
	v_and_or_b32 v11, 0x8000, v12, v11
	s_wait_alu 0xfffd
	v_cndmask_b32_e32 v15, v48, v15, vcc_lo
	v_cmp_eq_u32_e32 vcc_lo, 0x40f, v51
	v_add_nc_u32_e32 v63, 0xfffffc10, v63
	v_and_b32_e32 v11, 0xffff, v11
	s_delay_alu instid0(VALU_DEP_4)
	v_and_or_b32 v12, 0x8000, v16, v15
	s_wait_alu 0xfffd
	v_cndmask_b32_e32 v22, v50, v22, vcc_lo
	v_cmp_eq_u32_e32 vcc_lo, 0x40f, v53
	v_and_b32_e32 v15, 0xffff, v17
	v_lshl_or_b32 v11, v12, 16, v11
	s_delay_alu instid0(VALU_DEP_4)
	v_and_or_b32 v14, 0x8000, v23, v22
	s_wait_alu 0xfffd
	v_cndmask_b32_e32 v9, v52, v9, vcc_lo
	v_cmp_eq_u32_e32 vcc_lo, 0x40f, v55
	v_lshl_or_b32 v13, v13, 16, v15
	s_clause 0x1
	global_store_b32 v[18:19], v13, off
	global_store_b32 v[24:25], v11, off
	s_wait_alu 0xfffd
	v_cndmask_b32_e32 v20, v54, v20, vcc_lo
	v_cmp_eq_u32_e32 vcc_lo, 0x40f, v57
	v_and_or_b32 v9, 0x8000, v10, v9
	v_and_b32_e32 v14, 0xffff, v14
	v_bfe_u32 v11, v4, 20, 11
	v_and_or_b32 v10, 0x8000, v21, v20
	s_wait_alu 0xfffd
	v_cndmask_b32_e32 v26, v56, v26, vcc_lo
	v_cmp_eq_u32_e32 vcc_lo, 0x40f, v59
	v_bfe_u32 v23, v1, 20, 11
	v_lshl_or_b32 v9, v9, 16, v14
	v_and_b32_e32 v10, 0xffff, v10
	v_and_or_b32 v16, 0x8000, v27, v26
	s_wait_alu 0xfffd
	v_cndmask_b32_e32 v28, v58, v28, vcc_lo
	v_cmp_eq_u32_e32 vcc_lo, 0x40f, v61
	v_or_b32_e32 v14, v96, v62
	v_lshl_or_b32 v15, v63, 12, v32
	v_lshl_or_b32 v10, v16, 16, v10
	v_and_or_b32 v12, 0x8000, v29, v28
	s_wait_alu 0xfffd
	v_cndmask_b32_e32 v30, v60, v30, vcc_lo
	v_sub_nc_u32_e32 v16, 0x3f1, v11
	v_cmp_gt_i32_e32 vcc_lo, 1, v63
	s_clause 0x1
	global_store_b32 v[42:43], v9, off
	global_store_b32 v[44:45], v10, off
	v_and_b32_e32 v12, 0xffff, v12
	v_and_or_b32 v13, 0x8000, v31, v30
	v_med3_i32 v16, v16, 0, 13
	s_wait_alu 0xfffd
	v_cndmask_b32_e32 v14, v15, v14, vcc_lo
	v_or_b32_e32 v15, 0x1000, v3
	v_add_co_u32 v9, vcc_lo, v44, s22
	v_lshl_or_b32 v17, v13, 16, v12
	s_delay_alu instid0(VALU_DEP_4) | instskip(NEXT) | instid1(VALU_DEP_4)
	v_and_b32_e32 v12, 7, v14
	v_lshrrev_b32_e32 v13, v16, v15
	s_wait_alu 0xfffd
	v_add_co_ci_u32_e32 v10, vcc_lo, s23, v45, vcc_lo
	v_lshrrev_b32_e32 v14, 2, v14
	v_cmp_lt_i32_e32 vcc_lo, 5, v12
	v_lshlrev_b32_e32 v16, v16, v13
	v_cmp_eq_u32_e64 s0, 3, v12
	v_lshrrev_b32_e32 v18, 16, v2
	s_wait_loadcnt 0x3
	v_lshrrev_b32_e32 v19, 16, v5
	v_lshrrev_b32_e32 v22, 8, v1
	v_cmp_ne_u32_e64 s1, v16, v15
	v_add_nc_u32_e32 v16, 0xfffffc10, v11
	v_mul_f64_e32 v[11:12], s[24:25], v[46:47]
	s_or_b32 vcc_lo, s0, vcc_lo
	v_mul_f16_e32 v20, v18, v19
	v_cndmask_b32_e64 v15, 0, 1, s1
	s_wait_alu 0xfffe
	v_add_co_ci_u32_e32 v21, vcc_lo, 0, v14, vcc_lo
	v_cmp_gt_i32_e32 vcc_lo, 1, v16
	v_fmac_f16_e32 v20, v2, v5
	v_or_b32_e32 v13, v13, v15
	v_lshl_or_b32 v15, v16, 12, v3
	v_cmp_eq_u32_e64 s1, 0x40f, v63
	v_mul_f16_e32 v2, v2, v19
	global_store_b32 v[9:10], v17, off
	v_lshrrev_b32_e32 v1, 16, v1
	s_wait_alu 0xfffd
	v_cndmask_b32_e32 v15, v15, v13, vcc_lo
	v_cmp_ne_u32_e32 vcc_lo, 0, v0
	v_cvt_f32_f16_e32 v13, v20
	v_fma_f16 v2, v5, v18, -v2
	global_load_b32 v20, v39, s[20:21] offset:16896
	v_and_b32_e32 v25, 7, v15
	s_wait_alu 0xfffd
	v_cndmask_b32_e64 v0, 0, 1, vcc_lo
	v_cmp_ne_u32_e32 vcc_lo, 0, v32
	v_cvt_f64_f32_e32 v[13:14], v13
	v_lshrrev_b32_e32 v15, 2, v15
	v_cmp_eq_u32_e64 s0, 3, v25
	v_and_or_b32 v0, 0xffe, v22, v0
	s_wait_alu 0xfffd
	v_cndmask_b32_e64 v24, 0, 1, vcc_lo
	v_sub_nc_u32_e32 v22, 0x3f1, v23
	v_cmp_gt_i32_e32 vcc_lo, 31, v63
	v_add_nc_u32_e32 v23, 0xfffffc10, v23
	v_or_b32_e32 v26, 0x1000, v0
	v_lshl_or_b32 v24, v24, 9, 0x7c00
	v_med3_i32 v22, v22, 0, 13
	s_wait_alu 0xfffd
	v_cndmask_b32_e32 v21, 0x7c00, v21, vcc_lo
	v_cmp_lt_i32_e32 vcc_lo, 5, v25
	v_lshrrev_b32_e32 v25, 16, v33
	s_wait_alu 0xf1ff
	s_delay_alu instid0(VALU_DEP_3)
	v_cndmask_b32_e64 v21, v21, v24, s1
	v_lshrrev_b32_e32 v24, v22, v26
	s_or_b32 vcc_lo, s0, vcc_lo
	v_and_or_b32 v11, 0x1ff, v12, v11
	s_wait_alu 0xfffe
	v_add_co_ci_u32_e32 v15, vcc_lo, 0, v15, vcc_lo
	v_lshlrev_b32_e32 v22, v22, v24
	v_cmp_ne_u32_e32 vcc_lo, 0, v3
	v_bfe_u32 v18, v12, 20, 11
	v_and_or_b32 v17, 0x8000, v25, v21
	s_wait_alu 0xfffd
	v_cndmask_b32_e64 v19, 0, 1, vcc_lo
	v_cmp_ne_u32_e32 vcc_lo, v22, v26
	s_delay_alu instid0(VALU_DEP_3) | instskip(NEXT) | instid1(VALU_DEP_3)
	v_and_b32_e32 v17, 0xffff, v17
	v_lshl_or_b32 v19, v19, 9, 0x7c00
	s_wait_alu 0xfffd
	v_cndmask_b32_e64 v3, 0, 1, vcc_lo
	v_cmp_ne_u32_e32 vcc_lo, 0, v11
	v_lshrrev_b32_e32 v11, 8, v12
	s_delay_alu instid0(VALU_DEP_3)
	v_or_b32_e32 v22, v24, v3
	s_wait_alu 0xfffd
	v_cndmask_b32_e64 v5, 0, 1, vcc_lo
	v_cvt_f32_f16_e32 v24, v2
	v_cmp_gt_i32_e32 vcc_lo, 31, v16
	v_mul_f64_e32 v[2:3], s[24:25], v[13:14]
	s_delay_alu instid0(VALU_DEP_4)
	v_and_or_b32 v11, 0xffe, v11, v5
	v_sub_nc_u32_e32 v5, 0x3f1, v18
	v_cvt_f64_f32_e32 v[13:14], v24
	v_lshl_or_b32 v24, v23, 12, v0
	s_wait_alu 0xfffd
	v_cndmask_b32_e32 v15, 0x7c00, v15, vcc_lo
	v_or_b32_e32 v26, 0x1000, v11
	v_med3_i32 v5, v5, 0, 13
	v_cmp_gt_i32_e32 vcc_lo, 1, v23
	v_add_nc_u32_e32 v18, 0xfffffc10, v18
	s_wait_alu 0xfffd
	v_cndmask_b32_e32 v22, v24, v22, vcc_lo
	v_lshrrev_b32_e32 v24, v5, v26
	v_cmp_eq_u32_e32 vcc_lo, 0x40f, v16
	v_lshrrev_b32_e32 v16, 16, v4
	s_delay_alu instid0(VALU_DEP_3)
	v_lshlrev_b32_e32 v27, v5, v24
	s_wait_alu 0xfffd
	v_cndmask_b32_e32 v15, v15, v19, vcc_lo
	v_and_b32_e32 v19, 7, v22
	ds_load_2addr_stride64_b32 v[4:5], v39 offset0:48 offset1:54
	v_cmp_ne_u32_e64 s0, v27, v26
	v_and_or_b32 v21, 0x8000, v16, v15
	v_cmp_lt_i32_e32 vcc_lo, 5, v19
	v_lshrrev_b32_e32 v16, 2, v22
	s_wait_alu 0xf1ff
	v_cndmask_b32_e64 v15, 0, 1, s0
	v_cmp_eq_u32_e64 s0, 3, v19
	v_lshl_or_b32 v19, v18, 12, v11
	v_lshl_or_b32 v17, v21, 16, v17
	s_delay_alu instid0(VALU_DEP_4) | instskip(NEXT) | instid1(VALU_DEP_4)
	v_or_b32_e32 v15, v24, v15
	s_or_b32 vcc_lo, s0, vcc_lo
	s_wait_loadcnt 0x3
	v_lshrrev_b32_e32 v24, 16, v8
	s_wait_alu 0xfffe
	v_add_co_ci_u32_e32 v16, vcc_lo, 0, v16, vcc_lo
	v_cmp_ne_u32_e32 vcc_lo, 0, v0
	v_and_or_b32 v2, 0x1ff, v3, v2
	v_mul_f64_e32 v[13:14], s[24:25], v[13:14]
	s_wait_dscnt 0x0
	v_lshrrev_b32_e32 v22, 16, v4
	v_lshrrev_b32_e32 v26, 8, v3
	s_wait_alu 0xfffd
	v_cndmask_b32_e64 v0, 0, 1, vcc_lo
	v_cmp_gt_i32_e32 vcc_lo, 1, v18
	v_bfe_u32 v27, v3, 20, 11
	v_lshrrev_b32_e32 v3, 16, v3
	s_delay_alu instid0(VALU_DEP_4) | instskip(SKIP_3) | instid1(VALU_DEP_2)
	v_lshl_or_b32 v0, v0, 9, 0x7c00
	s_wait_alu 0xfffd
	v_cndmask_b32_e32 v19, v19, v15, vcc_lo
	v_cmp_gt_i32_e32 vcc_lo, 31, v23
	v_and_b32_e32 v25, 7, v19
	s_wait_alu 0xfffd
	v_cndmask_b32_e32 v15, 0x7c00, v16, vcc_lo
	v_mul_f16_e32 v16, v22, v24
	v_cmp_ne_u32_e32 vcc_lo, 0, v2
	v_lshrrev_b32_e32 v19, 2, v19
	v_cmp_eq_u32_e64 s0, 3, v25
	s_delay_alu instid0(VALU_DEP_4)
	v_fmac_f16_e32 v16, v4, v8
	s_wait_alu 0xfffd
	v_cndmask_b32_e64 v2, 0, 1, vcc_lo
	v_cmp_eq_u32_e32 vcc_lo, 0x40f, v23
	v_sub_nc_u32_e32 v23, 0x3f1, v27
	v_mul_f16_e32 v4, v4, v24
	s_delay_alu instid0(VALU_DEP_4)
	v_and_or_b32 v2, 0xffe, v26, v2
	s_wait_alu 0xfffd
	v_cndmask_b32_e32 v0, v15, v0, vcc_lo
	v_cvt_f32_f16_e32 v15, v16
	v_cmp_lt_i32_e32 vcc_lo, 5, v25
	v_med3_i32 v23, v23, 0, 13
	v_or_b32_e32 v25, 0x1000, v2
	v_and_or_b32 v24, 0x8000, v1, v0
	v_cvt_f64_f32_e32 v[15:16], v15
	s_or_b32 vcc_lo, s0, vcc_lo
	v_fma_f16 v1, v8, v22, -v4
	s_wait_alu 0xfffe
	v_add_co_ci_u32_e32 v19, vcc_lo, 0, v19, vcc_lo
	v_cmp_ne_u32_e32 vcc_lo, 0, v11
	v_lshrrev_b32_e32 v26, v23, v25
	v_and_or_b32 v4, 0x1ff, v14, v13
	v_add_nc_u32_e32 v13, 0xfffffc10, v27
	v_lshrrev_b32_e32 v8, 8, v14
	s_wait_alu 0xfffd
	v_cndmask_b32_e64 v11, 0, 1, vcc_lo
	v_cmp_gt_i32_e32 vcc_lo, 31, v18
	v_lshlrev_b32_e32 v0, v23, v26
	v_lshl_or_b32 v22, v13, 12, v2
	v_cvt_f32_f16_e32 v1, v1
	v_lshl_or_b32 v11, v11, 9, 0x7c00
	s_wait_alu 0xfffd
	v_cndmask_b32_e32 v19, 0x7c00, v19, vcc_lo
	v_cmp_eq_u32_e32 vcc_lo, 0x40f, v18
	s_wait_alu 0xfffd
	s_delay_alu instid0(VALU_DEP_2)
	v_cndmask_b32_e32 v18, v19, v11, vcc_lo
	v_cmp_ne_u32_e32 vcc_lo, v0, v25
	v_bfe_u32 v19, v14, 20, 11
	v_lshrrev_b32_e32 v14, 16, v14
	s_wait_alu 0xfffd
	v_cndmask_b32_e64 v0, 0, 1, vcc_lo
	v_cmp_ne_u32_e32 vcc_lo, 0, v4
	v_sub_nc_u32_e32 v23, 0x3f1, v19
	s_delay_alu instid0(VALU_DEP_3) | instskip(SKIP_4) | instid1(VALU_DEP_3)
	v_or_b32_e32 v11, v26, v0
	s_wait_alu 0xfffd
	v_cndmask_b32_e64 v4, 0, 1, vcc_lo
	v_cmp_gt_i32_e32 vcc_lo, 1, v13
	v_cvt_f64_f32_e32 v[0:1], v1
	v_and_or_b32 v4, 0xffe, v8, v4
	v_lshrrev_b32_e32 v8, 16, v12
	s_wait_alu 0xfffd
	v_cndmask_b32_e32 v22, v22, v11, vcc_lo
	v_mul_f64_e32 v[11:12], s[24:25], v[15:16]
	v_med3_i32 v15, v23, 0, 13
	v_or_b32_e32 v25, 0x1000, v4
	v_and_or_b32 v16, 0x8000, v8, v18
	v_and_b32_e32 v21, 7, v22
	v_add_co_u32 v8, vcc_lo, v9, s22
	s_wait_alu 0xfffd
	v_add_co_ci_u32_e32 v9, vcc_lo, s23, v10, vcc_lo
	v_and_b32_e32 v18, 0xffff, v24
	v_cmp_lt_i32_e32 vcc_lo, 5, v21
	v_cmp_eq_u32_e64 s0, 3, v21
	v_lshrrev_b32_e32 v21, 16, v5
	s_wait_loadcnt 0x2
	v_lshrrev_b32_e32 v24, 16, v6
	v_lshrrev_b32_e32 v23, v15, v25
	v_lshl_or_b32 v18, v16, 16, v18
	s_or_b32 vcc_lo, s0, vcc_lo
	s_delay_alu instid0(VALU_DEP_3) | instskip(NEXT) | instid1(VALU_DEP_3)
	v_mul_f16_e32 v16, v21, v24
	v_lshlrev_b32_e32 v10, v15, v23
	s_delay_alu instid0(VALU_DEP_2) | instskip(SKIP_1) | instid1(VALU_DEP_3)
	v_fmac_f16_e32 v16, v5, v6
	v_mul_f16_e32 v5, v5, v24
	v_cmp_ne_u32_e64 s1, v10, v25
	s_delay_alu instid0(VALU_DEP_2) | instskip(SKIP_1) | instid1(VALU_DEP_2)
	v_fma_f16 v5, v6, v21, -v5
	s_wait_alu 0xf1ff
	v_cndmask_b32_e64 v10, 0, 1, s1
	v_mul_f64_e32 v[0:1], s[24:25], v[0:1]
	s_delay_alu instid0(VALU_DEP_2) | instskip(SKIP_2) | instid1(VALU_DEP_1)
	v_or_b32_e32 v10, v23, v10
	v_add_nc_u32_e32 v19, 0xfffffc10, v19
	v_and_or_b32 v26, 0x1ff, v12, v11
	v_cmp_ne_u32_e64 s0, 0, v26
	v_bfe_u32 v26, v12, 20, 11
	s_delay_alu instid0(VALU_DEP_1) | instskip(SKIP_2) | instid1(VALU_DEP_3)
	v_add_nc_u32_e32 v21, 0xfffffc10, v26
	v_lshrrev_b32_e32 v15, 2, v22
	v_lshl_or_b32 v22, v19, 12, v4
	v_cmp_eq_u32_e64 s1, 0x40f, v21
	s_wait_alu 0xfffe
	s_delay_alu instid0(VALU_DEP_3) | instskip(SKIP_4) | instid1(VALU_DEP_2)
	v_add_co_ci_u32_e32 v15, vcc_lo, 0, v15, vcc_lo
	v_cmp_ne_u32_e32 vcc_lo, 0, v2
	s_wait_alu 0xfffd
	v_cndmask_b32_e64 v2, 0, 1, vcc_lo
	v_cmp_gt_i32_e32 vcc_lo, 1, v19
	v_lshl_or_b32 v2, v2, 9, 0x7c00
	s_wait_alu 0xfffd
	v_cndmask_b32_e32 v22, v22, v10, vcc_lo
	v_cmp_gt_i32_e32 vcc_lo, 31, v13
	v_cvt_f32_f16_e32 v10, v16
	v_and_or_b32 v0, 0x1ff, v1, v0
	s_delay_alu instid0(VALU_DEP_4)
	v_and_b32_e32 v25, 7, v22
	s_wait_alu 0xfffd
	v_cndmask_b32_e32 v23, 0x7c00, v15, vcc_lo
	v_add_co_u32 v15, vcc_lo, v8, s22
	s_wait_alu 0xfffd
	v_add_co_ci_u32_e32 v16, vcc_lo, s23, v9, vcc_lo
	v_cvt_f64_f32_e32 v[10:11], v10
	v_cmp_eq_u32_e32 vcc_lo, 0x40f, v13
	s_wait_alu 0xf1ff
	v_cndmask_b32_e64 v13, 0, 1, s0
	v_cmp_eq_u32_e64 s0, 3, v25
	v_lshrrev_b32_e32 v22, 2, v22
	s_wait_alu 0xfffd
	v_cndmask_b32_e32 v2, v23, v2, vcc_lo
	v_cmp_lt_i32_e32 vcc_lo, 5, v25
	v_lshrrev_b32_e32 v23, 8, v12
	v_lshrrev_b32_e32 v12, 16, v12
	s_delay_alu instid0(VALU_DEP_4) | instskip(SKIP_1) | instid1(VALU_DEP_3)
	v_and_or_b32 v27, 0x8000, v3, v2
	s_or_b32 vcc_lo, s0, vcc_lo
	v_and_or_b32 v23, 0xffe, v23, v13
	s_wait_alu 0xfffe
	v_add_co_ci_u32_e32 v22, vcc_lo, 0, v22, vcc_lo
	v_sub_nc_u32_e32 v13, 0x3f1, v26
	v_cmp_ne_u32_e32 vcc_lo, 0, v4
	v_or_b32_e32 v25, 0x1000, v23
	s_delay_alu instid0(VALU_DEP_3) | instskip(SKIP_3) | instid1(VALU_DEP_3)
	v_med3_i32 v13, v13, 0, 13
	s_wait_alu 0xfffd
	v_cndmask_b32_e64 v4, 0, 1, vcc_lo
	v_cmp_gt_i32_e32 vcc_lo, 31, v19
	v_lshrrev_b32_e32 v28, v13, v25
	s_delay_alu instid0(VALU_DEP_3) | instskip(SKIP_4) | instid1(VALU_DEP_2)
	v_lshl_or_b32 v4, v4, 9, 0x7c00
	s_wait_alu 0xfffd
	v_cndmask_b32_e32 v22, 0x7c00, v22, vcc_lo
	v_cmp_eq_u32_e32 vcc_lo, 0x40f, v19
	s_wait_alu 0xfffd
	v_cndmask_b32_e32 v19, v22, v4, vcc_lo
	v_lshlrev_b32_e32 v4, v13, v28
	v_cmp_ne_u32_e32 vcc_lo, 0, v0
	v_lshrrev_b32_e32 v13, 8, v1
	v_bfe_u32 v22, v1, 20, 11
	v_mul_f64_e32 v[2:3], s[24:25], v[10:11]
	v_cvt_f32_f16_e32 v11, v5
	s_wait_alu 0xfffd
	v_cndmask_b32_e64 v0, 0, 1, vcc_lo
	v_cmp_ne_u32_e32 vcc_lo, v4, v25
	v_sub_nc_u32_e32 v10, 0x3f1, v22
	ds_load_2addr_stride64_b32 v[4:5], v39 offset0:60 offset1:66
	global_store_b32 v[8:9], v17, off
	global_store_b32 v[15:16], v18, off
	v_and_or_b32 v0, 0xffe, v13, v0
	s_wait_alu 0xfffd
	v_cndmask_b32_e64 v6, 0, 1, vcc_lo
	v_lshl_or_b32 v13, v21, 12, v23
	v_med3_i32 v25, v10, 0, 13
	v_cmp_gt_i32_e32 vcc_lo, 1, v21
	v_or_b32_e32 v24, 0x1000, v0
	v_or_b32_e32 v6, v28, v6
	v_cvt_f64_f32_e32 v[10:11], v11
	v_and_or_b32 v14, 0x8000, v14, v19
	v_and_b32_e32 v19, 0xffff, v27
	v_lshrrev_b32_e32 v1, 16, v1
	s_wait_alu 0xfffd
	v_cndmask_b32_e32 v6, v13, v6, vcc_lo
	v_lshrrev_b32_e32 v13, v25, v24
	v_add_co_u32 v8, vcc_lo, v15, s22
	v_lshl_or_b32 v17, v14, 16, v19
	s_delay_alu instid0(VALU_DEP_4) | instskip(NEXT) | instid1(VALU_DEP_4)
	v_and_b32_e32 v14, 7, v6
	v_lshlrev_b32_e32 v18, v25, v13
	s_wait_alu 0xfffd
	v_add_co_ci_u32_e32 v9, vcc_lo, s23, v16, vcc_lo
	s_wait_dscnt 0x0
	v_lshrrev_b32_e32 v15, 16, v4
	s_wait_loadcnt 0x1
	v_lshrrev_b32_e32 v16, 16, v7
	v_cmp_ne_u32_e64 s0, v18, v24
	v_cmp_lt_i32_e32 vcc_lo, 5, v14
	v_lshrrev_b32_e32 v6, 2, v6
	s_wait_alu 0xf1ff
	s_delay_alu instid0(VALU_DEP_3) | instskip(SKIP_2) | instid1(VALU_DEP_3)
	v_cndmask_b32_e64 v18, 0, 1, s0
	v_cmp_eq_u32_e64 s0, 3, v14
	v_and_or_b32 v2, 0x1ff, v3, v2
	v_or_b32_e32 v13, v13, v18
	v_add_nc_u32_e32 v19, 0xfffffc10, v22
	v_mul_f16_e32 v22, v15, v16
	s_or_b32 vcc_lo, s0, vcc_lo
	v_lshrrev_b32_e32 v24, 8, v3
	s_wait_alu 0xfffe
	v_add_co_ci_u32_e32 v6, vcc_lo, 0, v6, vcc_lo
	v_fmac_f16_e32 v22, v4, v7
	v_lshl_or_b32 v14, v19, 12, v0
	v_cmp_gt_i32_e32 vcc_lo, 1, v19
	v_mul_f16_e32 v4, v4, v16
	s_delay_alu instid0(VALU_DEP_4)
	v_cvt_f32_f16_e32 v18, v22
	v_mul_f64_e32 v[10:11], s[24:25], v[10:11]
	s_wait_alu 0xfffd
	v_cndmask_b32_e32 v22, v14, v13, vcc_lo
	v_cmp_ne_u32_e32 vcc_lo, 0, v2
	v_fma_f16 v4, v7, v15, -v4
	v_cvt_f64_f32_e32 v[13:14], v18
	v_bfe_u32 v18, v3, 20, 11
	v_and_b32_e32 v25, 7, v22
	s_wait_alu 0xfffd
	v_cndmask_b32_e64 v2, 0, 1, vcc_lo
	v_cmp_ne_u32_e32 vcc_lo, 0, v23
	v_lshrrev_b32_e32 v22, 2, v22
	v_cvt_f32_f16_e32 v4, v4
	v_cmp_eq_u32_e64 s0, 3, v25
	v_and_or_b32 v2, 0xffe, v24, v2
	s_wait_alu 0xfffd
	v_cndmask_b32_e64 v23, 0, 1, vcc_lo
	v_cmp_gt_i32_e32 vcc_lo, 31, v21
	v_sub_nc_u32_e32 v24, 0x3f1, v18
	v_add_nc_u32_e32 v18, 0xfffffc10, v18
	v_or_b32_e32 v26, 0x1000, v2
	v_lshl_or_b32 v23, v23, 9, 0x7c00
	s_wait_alu 0xfffd
	v_cndmask_b32_e32 v6, 0x7c00, v6, vcc_lo
	v_cmp_lt_i32_e32 vcc_lo, 5, v25
	v_med3_i32 v24, v24, 0, 13
	v_lshl_or_b32 v16, v18, 12, v2
	s_delay_alu instid0(VALU_DEP_4) | instskip(SKIP_1) | instid1(VALU_DEP_3)
	v_cndmask_b32_e64 v6, v6, v23, s1
	s_or_b32 vcc_lo, s0, vcc_lo
	v_lshrrev_b32_e32 v21, v24, v26
	s_wait_alu 0xfffe
	v_add_co_ci_u32_e32 v22, vcc_lo, 0, v22, vcc_lo
	v_cmp_ne_u32_e32 vcc_lo, 0, v0
	v_and_or_b32 v6, 0x8000, v12, v6
	v_lshlrev_b32_e32 v23, v24, v21
	s_wait_alu 0xfffd
	v_cndmask_b32_e64 v0, 0, 1, vcc_lo
	v_cmp_gt_i32_e32 vcc_lo, 31, v19
	v_and_b32_e32 v6, 0xffff, v6
	v_and_or_b32 v10, 0x1ff, v11, v10
	s_delay_alu instid0(VALU_DEP_4)
	v_lshl_or_b32 v0, v0, 9, 0x7c00
	s_wait_alu 0xfffd
	v_cndmask_b32_e32 v22, 0x7c00, v22, vcc_lo
	v_cmp_ne_u32_e32 vcc_lo, v23, v26
	v_mul_f64_e32 v[12:13], s[24:25], v[13:14]
	v_lshrrev_b32_e32 v14, 8, v11
	v_bfe_u32 v15, v11, 20, 11
	v_lshrrev_b32_e32 v11, 16, v11
	s_wait_alu 0xfffd
	v_cndmask_b32_e64 v23, 0, 1, vcc_lo
	v_cmp_eq_u32_e32 vcc_lo, 0x40f, v19
	s_delay_alu instid0(VALU_DEP_2)
	v_or_b32_e32 v19, v21, v23
	s_wait_alu 0xfffd
	v_cndmask_b32_e32 v0, v22, v0, vcc_lo
	v_cmp_gt_i32_e32 vcc_lo, 1, v18
	s_wait_loadcnt 0x0
	v_lshrrev_b32_e32 v21, 16, v20
	s_wait_alu 0xfffd
	v_cndmask_b32_e32 v7, v16, v19, vcc_lo
	v_cmp_ne_u32_e32 vcc_lo, 0, v10
	v_and_or_b32 v16, 0x8000, v1, v0
	v_cvt_f64_f32_e32 v[0:1], v4
	v_sub_nc_u32_e32 v4, 0x3f1, v15
	v_and_b32_e32 v19, 7, v7
	s_wait_alu 0xfffd
	v_cndmask_b32_e64 v10, 0, 1, vcc_lo
	v_lshl_or_b32 v16, v16, 16, v6
	v_lshrrev_b32_e32 v6, 2, v7
	v_med3_i32 v4, v4, 0, 13
	v_cmp_lt_i32_e32 vcc_lo, 5, v19
	v_and_or_b32 v10, 0xffe, v14, v10
	v_cmp_eq_u32_e64 s0, 3, v19
	v_lshrrev_b32_e32 v14, 16, v5
	s_delay_alu instid0(VALU_DEP_3) | instskip(NEXT) | instid1(VALU_DEP_3)
	v_or_b32_e32 v22, 0x1000, v10
	s_or_b32 vcc_lo, s0, vcc_lo
	s_delay_alu instid0(VALU_DEP_2)
	v_mul_f16_e32 v23, v14, v21
	s_wait_alu 0xfffe
	v_add_co_ci_u32_e32 v6, vcc_lo, 0, v6, vcc_lo
	v_lshrrev_b32_e32 v19, v4, v22
	v_cmp_ne_u32_e32 vcc_lo, 0, v2
	v_fmac_f16_e32 v23, v5, v20
	v_and_or_b32 v12, 0x1ff, v13, v12
	v_mul_f16_e32 v5, v5, v21
	v_lshlrev_b32_e32 v4, v4, v19
	s_wait_alu 0xfffd
	v_cndmask_b32_e64 v2, 0, 1, vcc_lo
	v_cmp_gt_i32_e32 vcc_lo, 31, v18
	v_cvt_f32_f16_e32 v7, v23
	v_lshrrev_b32_e32 v21, 8, v13
	v_fma_f16 v5, v20, v14, -v5
	v_lshl_or_b32 v2, v2, 9, 0x7c00
	s_wait_alu 0xfffd
	v_cndmask_b32_e32 v23, 0x7c00, v6, vcc_lo
	v_cmp_ne_u32_e32 vcc_lo, v4, v22
	v_cvt_f64_f32_e32 v[6:7], v7
	v_cvt_f32_f16_e32 v5, v5
	v_lshrrev_b32_e32 v22, 16, v3
	s_wait_alu 0xfffd
	v_cndmask_b32_e64 v4, 0, 1, vcc_lo
	v_cmp_ne_u32_e32 vcc_lo, 0, v12
	v_mul_f64_e32 v[0:1], s[24:25], v[0:1]
	s_delay_alu instid0(VALU_DEP_3)
	v_or_b32_e32 v4, v19, v4
	s_wait_alu 0xfffd
	v_cndmask_b32_e64 v12, 0, 1, vcc_lo
	v_bfe_u32 v19, v13, 20, 11
	v_add_nc_u32_e32 v15, 0xfffffc10, v15
	v_lshrrev_b32_e32 v13, 16, v13
	s_delay_alu instid0(VALU_DEP_4) | instskip(NEXT) | instid1(VALU_DEP_4)
	v_and_or_b32 v12, 0xffe, v21, v12
	v_sub_nc_u32_e32 v20, 0x3f1, v19
	s_delay_alu instid0(VALU_DEP_4)
	v_lshl_or_b32 v14, v15, 12, v10
	v_cmp_gt_i32_e32 vcc_lo, 1, v15
	v_add_nc_u32_e32 v19, 0xfffffc10, v19
	v_or_b32_e32 v21, 0x1000, v12
	v_med3_i32 v20, v20, 0, 13
	s_wait_alu 0xfffd
	v_cndmask_b32_e32 v14, v14, v4, vcc_lo
	v_cmp_eq_u32_e32 vcc_lo, 0x40f, v18
	v_cvt_f64_f32_e32 v[4:5], v5
	v_lshrrev_b32_e32 v24, v20, v21
	s_wait_alu 0xfffd
	v_cndmask_b32_e32 v18, v23, v2, vcc_lo
	v_add_co_u32 v2, vcc_lo, v8, s22
	s_delay_alu instid0(VALU_DEP_3) | instskip(SKIP_3) | instid1(VALU_DEP_3)
	v_lshlrev_b32_e32 v20, v20, v24
	s_wait_alu 0xfffd
	v_add_co_ci_u32_e32 v3, vcc_lo, s23, v9, vcc_lo
	v_and_or_b32 v18, 0x8000, v22, v18
	v_cmp_ne_u32_e64 s1, v20, v21
	v_lshl_or_b32 v21, v19, 12, v12
	v_mul_f64_e32 v[6:7], s[24:25], v[6:7]
	s_wait_alu 0xf1ff
	s_delay_alu instid0(VALU_DEP_3) | instskip(SKIP_1) | instid1(VALU_DEP_2)
	v_cndmask_b32_e64 v20, 0, 1, s1
	v_and_or_b32 v0, 0x1ff, v1, v0
	v_or_b32_e32 v20, v24, v20
	v_and_b32_e32 v23, 7, v14
	v_lshrrev_b32_e32 v14, 2, v14
	s_delay_alu instid0(VALU_DEP_2) | instskip(SKIP_1) | instid1(VALU_DEP_1)
	v_cmp_lt_i32_e32 vcc_lo, 5, v23
	v_cmp_eq_u32_e64 s0, 3, v23
	s_or_b32 vcc_lo, s0, vcc_lo
	s_wait_alu 0xfffe
	v_add_co_ci_u32_e32 v14, vcc_lo, 0, v14, vcc_lo
	v_cmp_ne_u32_e32 vcc_lo, 0, v10
	v_mul_f64_e32 v[4:5], s[24:25], v[4:5]
	s_wait_alu 0xfffd
	v_cndmask_b32_e64 v10, 0, 1, vcc_lo
	v_cmp_gt_i32_e32 vcc_lo, 31, v15
	s_delay_alu instid0(VALU_DEP_2)
	v_lshl_or_b32 v10, v10, 9, 0x7c00
	s_wait_alu 0xfffd
	v_cndmask_b32_e32 v14, 0x7c00, v14, vcc_lo
	v_cmp_gt_i32_e32 vcc_lo, 1, v19
	v_and_or_b32 v6, 0x1ff, v7, v6
	v_bfe_u32 v22, v7, 20, 11
	s_wait_alu 0xfffd
	v_cndmask_b32_e32 v20, v21, v20, vcc_lo
	v_cmp_eq_u32_e32 vcc_lo, 0x40f, v15
	v_bfe_u32 v21, v1, 20, 11
	v_lshrrev_b32_e32 v15, 8, v1
	v_lshrrev_b32_e32 v1, 16, v1
	s_wait_alu 0xfffd
	v_cndmask_b32_e32 v10, v14, v10, vcc_lo
	v_cmp_ne_u32_e32 vcc_lo, 0, v0
	v_and_b32_e32 v14, 7, v20
	s_delay_alu instid0(VALU_DEP_3)
	v_and_or_b32 v10, 0x8000, v11, v10
	v_and_b32_e32 v11, 0xffff, v18
	s_wait_alu 0xfffd
	v_cndmask_b32_e64 v0, 0, 1, vcc_lo
	v_cmp_lt_i32_e32 vcc_lo, 5, v14
	v_cmp_eq_u32_e64 s0, 3, v14
	v_lshl_or_b32 v10, v10, 16, v11
	v_lshrrev_b32_e32 v11, 2, v20
	v_and_or_b32 v0, 0xffe, v15, v0
	v_sub_nc_u32_e32 v15, 0x3f1, v21
	s_or_b32 vcc_lo, s0, vcc_lo
	v_lshrrev_b32_e32 v20, 8, v7
	s_wait_alu 0xfffe
	v_add_co_ci_u32_e32 v11, vcc_lo, 0, v11, vcc_lo
	v_or_b32_e32 v14, 0x1000, v0
	v_med3_i32 v15, v15, 0, 13
	v_cmp_ne_u32_e32 vcc_lo, 0, v12
	v_and_or_b32 v4, 0x1ff, v5, v4
	v_lshrrev_b32_e32 v7, 16, v7
	s_delay_alu instid0(VALU_DEP_4) | instskip(SKIP_3) | instid1(VALU_DEP_3)
	v_lshrrev_b32_e32 v18, v15, v14
	s_wait_alu 0xfffd
	v_cndmask_b32_e64 v12, 0, 1, vcc_lo
	v_cmp_gt_i32_e32 vcc_lo, 31, v19
	v_lshlrev_b32_e32 v15, v15, v18
	s_delay_alu instid0(VALU_DEP_3)
	v_lshl_or_b32 v12, v12, 9, 0x7c00
	s_wait_alu 0xfffd
	v_cndmask_b32_e32 v11, 0x7c00, v11, vcc_lo
	v_cmp_ne_u32_e32 vcc_lo, 0, v6
	s_wait_alu 0xfffd
	v_cndmask_b32_e64 v6, 0, 1, vcc_lo
	v_cmp_ne_u32_e32 vcc_lo, v15, v14
	v_add_nc_u32_e32 v15, 0xfffffc10, v21
	v_bfe_u32 v21, v5, 20, 11
	s_delay_alu instid0(VALU_DEP_4) | instskip(SKIP_4) | instid1(VALU_DEP_2)
	v_and_or_b32 v6, 0xffe, v20, v6
	s_wait_alu 0xfffd
	v_cndmask_b32_e64 v14, 0, 1, vcc_lo
	v_sub_nc_u32_e32 v20, 0x3f1, v22
	v_cmp_eq_u32_e32 vcc_lo, 0x40f, v19
	v_med3_i32 v19, v20, 0, 13
	s_wait_alu 0xfffd
	v_cndmask_b32_e32 v11, v11, v12, vcc_lo
	v_or_b32_e32 v12, v18, v14
	v_lshl_or_b32 v14, v15, 12, v0
	v_or_b32_e32 v18, 0x1000, v6
	v_cmp_gt_i32_e32 vcc_lo, 1, v15
	v_lshrrev_b32_e32 v20, 8, v5
	v_and_or_b32 v11, 0x8000, v13, v11
	v_sub_nc_u32_e32 v13, 0x3f1, v21
	v_lshrrev_b32_e32 v5, 16, v5
	s_wait_alu 0xfffd
	v_cndmask_b32_e32 v12, v14, v12, vcc_lo
	v_lshrrev_b32_e32 v14, v19, v18
	v_cmp_ne_u32_e32 vcc_lo, 0, v4
	v_med3_i32 v13, v13, 0, 13
	v_and_b32_e32 v11, 0xffff, v11
	v_and_b32_e32 v23, 7, v12
	v_lshlrev_b32_e32 v19, v19, v14
	s_wait_alu 0xfffd
	v_cndmask_b32_e64 v4, 0, 1, vcc_lo
	v_lshrrev_b32_e32 v12, 2, v12
	v_cmp_lt_i32_e32 vcc_lo, 5, v23
	v_cmp_ne_u32_e64 s0, v19, v18
	s_delay_alu instid0(VALU_DEP_4) | instskip(SKIP_2) | instid1(VALU_DEP_3)
	v_and_or_b32 v4, 0xffe, v20, v4
	v_add_nc_u32_e32 v20, 0xfffffc10, v22
	s_wait_alu 0xf1ff
	v_cndmask_b32_e64 v18, 0, 1, s0
	v_cmp_eq_u32_e64 s0, 3, v23
	v_or_b32_e32 v19, 0x1000, v4
	v_lshl_or_b32 v22, v20, 12, v6
	s_delay_alu instid0(VALU_DEP_4) | instskip(NEXT) | instid1(VALU_DEP_4)
	v_or_b32_e32 v14, v14, v18
	s_or_b32 vcc_lo, s0, vcc_lo
	s_delay_alu instid0(VALU_DEP_3) | instskip(SKIP_3) | instid1(VALU_DEP_3)
	v_lshrrev_b32_e32 v18, v13, v19
	s_wait_alu 0xfffe
	v_add_co_ci_u32_e32 v12, vcc_lo, 0, v12, vcc_lo
	v_cmp_gt_i32_e32 vcc_lo, 1, v20
	v_lshlrev_b32_e32 v13, v13, v18
	s_wait_alu 0xfffd
	v_cndmask_b32_e32 v14, v22, v14, vcc_lo
	v_cmp_ne_u32_e32 vcc_lo, 0, v0
	s_wait_alu 0xfffd
	v_cndmask_b32_e64 v0, 0, 1, vcc_lo
	v_cmp_ne_u32_e32 vcc_lo, v13, v19
	v_add_nc_u32_e32 v19, 0xfffffc10, v21
	v_and_b32_e32 v21, 7, v14
	s_delay_alu instid0(VALU_DEP_4)
	v_lshl_or_b32 v0, v0, 9, 0x7c00
	s_wait_alu 0xfffd
	v_cndmask_b32_e64 v13, 0, 1, vcc_lo
	v_cmp_gt_i32_e32 vcc_lo, 31, v15
	v_cmp_gt_i32_e64 s1, 1, v19
	v_cmp_eq_u32_e64 s0, 3, v21
	s_delay_alu instid0(VALU_DEP_4)
	v_or_b32_e32 v13, v18, v13
	v_lshl_or_b32 v18, v19, 12, v4
	s_wait_alu 0xfffd
	v_cndmask_b32_e32 v12, 0x7c00, v12, vcc_lo
	v_cmp_lt_i32_e32 vcc_lo, 5, v21
	s_wait_alu 0xf1ff
	v_cndmask_b32_e64 v13, v18, v13, s1
	v_cmp_eq_u32_e64 s1, 0x40f, v15
	s_or_b32 vcc_lo, s0, vcc_lo
	s_delay_alu instid0(VALU_DEP_1)
	v_cndmask_b32_e64 v0, v12, v0, s1
	v_lshrrev_b32_e32 v12, 2, v14
	v_and_b32_e32 v14, 7, v13
	v_lshrrev_b32_e32 v13, 2, v13
	v_cmp_gt_i32_e64 s1, 31, v20
	s_wait_alu 0xfffe
	v_add_co_ci_u32_e32 v12, vcc_lo, 0, v12, vcc_lo
	v_cmp_ne_u32_e32 vcc_lo, 0, v6
	v_cmp_eq_u32_e64 s0, 3, v14
	s_wait_alu 0xf1ff
	s_delay_alu instid0(VALU_DEP_3) | instskip(SKIP_3) | instid1(VALU_DEP_2)
	v_cndmask_b32_e64 v12, 0x7c00, v12, s1
	s_wait_alu 0xfffd
	v_cndmask_b32_e64 v6, 0, 1, vcc_lo
	v_cmp_lt_i32_e32 vcc_lo, 5, v14
	v_lshl_or_b32 v6, v6, 9, 0x7c00
	s_or_b32 vcc_lo, s0, vcc_lo
	s_wait_alu 0xfffe
	v_add_co_ci_u32_e32 v13, vcc_lo, 0, v13, vcc_lo
	v_cmp_ne_u32_e32 vcc_lo, 0, v4
	s_wait_alu 0xfffd
	v_cndmask_b32_e64 v4, 0, 1, vcc_lo
	v_cmp_eq_u32_e32 vcc_lo, 0x40f, v20
	s_delay_alu instid0(VALU_DEP_2) | instskip(SKIP_3) | instid1(VALU_DEP_2)
	v_lshl_or_b32 v4, v4, 9, 0x7c00
	s_wait_alu 0xfffd
	v_cndmask_b32_e32 v6, v12, v6, vcc_lo
	v_cmp_gt_i32_e32 vcc_lo, 31, v19
	v_and_or_b32 v6, 0x8000, v7, v6
	s_wait_alu 0xfffd
	v_cndmask_b32_e32 v12, 0x7c00, v13, vcc_lo
	v_cmp_eq_u32_e32 vcc_lo, 0x40f, v19
	v_and_or_b32 v13, 0x8000, v1, v0
	v_and_b32_e32 v6, 0xffff, v6
	s_wait_alu 0xfffd
	v_cndmask_b32_e32 v4, v12, v4, vcc_lo
	v_add_co_u32 v0, vcc_lo, v2, s22
	s_wait_alu 0xfffd
	v_add_co_ci_u32_e32 v1, vcc_lo, s23, v3, vcc_lo
	s_delay_alu instid0(VALU_DEP_3) | instskip(NEXT) | instid1(VALU_DEP_3)
	v_and_or_b32 v7, 0x8000, v5, v4
	v_add_co_u32 v4, vcc_lo, v0, s22
	s_wait_alu 0xfffd
	s_delay_alu instid0(VALU_DEP_3) | instskip(NEXT) | instid1(VALU_DEP_3)
	v_add_co_ci_u32_e32 v5, vcc_lo, s23, v1, vcc_lo
	v_lshl_or_b32 v12, v7, 16, v6
	s_delay_alu instid0(VALU_DEP_3)
	v_add_co_u32 v6, vcc_lo, v4, s22
	v_lshl_or_b32 v11, v13, 16, v11
	s_wait_alu 0xfffd
	v_add_co_ci_u32_e32 v7, vcc_lo, s23, v5, vcc_lo
	global_store_b32 v[8:9], v17, off
	global_store_b32 v[2:3], v16, off
	;; [unrolled: 1-line block ×5, first 2 shown]
	global_load_b32 v2, v39, s[20:21] offset:18432
	ds_load_2addr_stride64_b32 v[0:1], v39 offset0:72 offset1:78
	s_wait_dscnt 0x0
	v_lshrrev_b32_e32 v3, 16, v0
	s_wait_loadcnt 0x0
	v_lshrrev_b32_e32 v4, 16, v2
	s_delay_alu instid0(VALU_DEP_1) | instskip(SKIP_1) | instid1(VALU_DEP_2)
	v_mul_f16_e32 v5, v3, v4
	v_mul_f16_e32 v4, v0, v4
	v_fmac_f16_e32 v5, v0, v2
	s_delay_alu instid0(VALU_DEP_2) | instskip(NEXT) | instid1(VALU_DEP_2)
	v_fma_f16 v0, v2, v3, -v4
	v_cvt_f32_f16_e32 v2, v5
	s_delay_alu instid0(VALU_DEP_2) | instskip(NEXT) | instid1(VALU_DEP_2)
	v_cvt_f32_f16_e32 v0, v0
	v_cvt_f64_f32_e32 v[2:3], v2
	s_delay_alu instid0(VALU_DEP_2) | instskip(NEXT) | instid1(VALU_DEP_2)
	v_cvt_f64_f32_e32 v[4:5], v0
	v_mul_f64_e32 v[2:3], s[24:25], v[2:3]
	s_delay_alu instid0(VALU_DEP_2) | instskip(NEXT) | instid1(VALU_DEP_2)
	v_mul_f64_e32 v[4:5], s[24:25], v[4:5]
	v_and_or_b32 v0, 0x1ff, v3, v2
	s_delay_alu instid0(VALU_DEP_2)
	v_and_or_b32 v2, 0x1ff, v5, v4
	v_lshrrev_b32_e32 v4, 8, v3
	v_bfe_u32 v8, v3, 20, 11
	v_lshrrev_b32_e32 v9, 8, v5
	v_cmp_ne_u32_e32 vcc_lo, 0, v0
	v_bfe_u32 v10, v5, 20, 11
	v_lshrrev_b32_e32 v3, 16, v3
	s_wait_alu 0xfffd
	v_cndmask_b32_e64 v0, 0, 1, vcc_lo
	v_cmp_ne_u32_e32 vcc_lo, 0, v2
	s_delay_alu instid0(VALU_DEP_2)
	v_and_or_b32 v0, 0xffe, v4, v0
	s_wait_alu 0xfffd
	v_cndmask_b32_e64 v2, 0, 1, vcc_lo
	v_sub_nc_u32_e32 v4, 0x3f1, v8
	v_add_nc_u32_e32 v8, 0xfffffc10, v8
	v_or_b32_e32 v11, 0x1000, v0
	s_delay_alu instid0(VALU_DEP_4) | instskip(SKIP_3) | instid1(VALU_DEP_4)
	v_and_or_b32 v2, 0xffe, v9, v2
	v_sub_nc_u32_e32 v9, 0x3f1, v10
	v_med3_i32 v4, v4, 0, 13
	v_add_nc_u32_e32 v10, 0xfffffc10, v10
	v_or_b32_e32 v12, 0x1000, v2
	s_delay_alu instid0(VALU_DEP_4) | instskip(NEXT) | instid1(VALU_DEP_4)
	v_med3_i32 v9, v9, 0, 13
	v_lshrrev_b32_e32 v13, v4, v11
	s_delay_alu instid0(VALU_DEP_2) | instskip(NEXT) | instid1(VALU_DEP_2)
	v_lshrrev_b32_e32 v14, v9, v12
	v_lshlrev_b32_e32 v4, v4, v13
	s_delay_alu instid0(VALU_DEP_2) | instskip(NEXT) | instid1(VALU_DEP_2)
	v_lshlrev_b32_e32 v9, v9, v14
	v_cmp_ne_u32_e32 vcc_lo, v4, v11
	v_lshl_or_b32 v11, v8, 12, v0
	s_wait_alu 0xfffd
	v_cndmask_b32_e64 v4, 0, 1, vcc_lo
	v_cmp_ne_u32_e32 vcc_lo, v9, v12
	v_lshl_or_b32 v12, v10, 12, v2
	s_delay_alu instid0(VALU_DEP_3) | instskip(SKIP_3) | instid1(VALU_DEP_2)
	v_or_b32_e32 v4, v13, v4
	s_wait_alu 0xfffd
	v_cndmask_b32_e64 v9, 0, 1, vcc_lo
	v_cmp_gt_i32_e32 vcc_lo, 1, v8
	v_or_b32_e32 v9, v14, v9
	s_wait_alu 0xfffd
	v_cndmask_b32_e32 v4, v11, v4, vcc_lo
	v_cmp_gt_i32_e32 vcc_lo, 1, v10
	s_delay_alu instid0(VALU_DEP_2) | instskip(SKIP_3) | instid1(VALU_DEP_3)
	v_and_b32_e32 v11, 7, v4
	s_wait_alu 0xfffd
	v_cndmask_b32_e32 v9, v12, v9, vcc_lo
	v_lshrrev_b32_e32 v4, 2, v4
	v_cmp_lt_i32_e32 vcc_lo, 5, v11
	v_cmp_eq_u32_e64 s0, 3, v11
	s_delay_alu instid0(VALU_DEP_4) | instskip(SKIP_1) | instid1(VALU_DEP_3)
	v_and_b32_e32 v12, 7, v9
	v_lshrrev_b32_e32 v9, 2, v9
	s_or_b32 vcc_lo, s0, vcc_lo
	s_delay_alu instid0(VALU_DEP_2)
	v_cmp_lt_i32_e64 s1, 5, v12
	s_wait_alu 0xfffe
	v_add_co_ci_u32_e32 v4, vcc_lo, 0, v4, vcc_lo
	v_cmp_eq_u32_e64 s2, 3, v12
	v_cmp_ne_u32_e32 vcc_lo, 0, v0
	s_wait_alu 0xfffd
	v_cndmask_b32_e64 v0, 0, 1, vcc_lo
	s_delay_alu instid0(VALU_DEP_3)
	s_or_b32 vcc_lo, s2, s1
	s_wait_alu 0xfffe
	v_add_co_ci_u32_e32 v9, vcc_lo, 0, v9, vcc_lo
	v_cmp_ne_u32_e32 vcc_lo, 0, v2
	v_lshl_or_b32 v0, v0, 9, 0x7c00
	s_wait_alu 0xfffd
	v_cndmask_b32_e64 v2, 0, 1, vcc_lo
	v_cmp_gt_i32_e32 vcc_lo, 31, v8
	s_delay_alu instid0(VALU_DEP_2)
	v_lshl_or_b32 v2, v2, 9, 0x7c00
	s_wait_alu 0xfffd
	v_cndmask_b32_e32 v4, 0x7c00, v4, vcc_lo
	v_cmp_gt_i32_e32 vcc_lo, 31, v10
	s_wait_alu 0xfffd
	v_cndmask_b32_e32 v9, 0x7c00, v9, vcc_lo
	v_cmp_eq_u32_e32 vcc_lo, 0x40f, v8
	s_wait_alu 0xfffd
	v_cndmask_b32_e32 v0, v4, v0, vcc_lo
	v_cmp_eq_u32_e32 vcc_lo, 0x40f, v10
	v_lshrrev_b32_e32 v4, 16, v5
	s_delay_alu instid0(VALU_DEP_3) | instskip(SKIP_2) | instid1(VALU_DEP_2)
	v_and_or_b32 v0, 0x8000, v3, v0
	s_wait_alu 0xfffd
	v_cndmask_b32_e32 v2, v9, v2, vcc_lo
	v_and_b32_e32 v0, 0xffff, v0
	s_delay_alu instid0(VALU_DEP_2) | instskip(SKIP_1) | instid1(VALU_DEP_2)
	v_and_or_b32 v2, 0x8000, v4, v2
	v_lshrrev_b32_e32 v4, 16, v1
	v_lshl_or_b32 v0, v2, 16, v0
	v_add_co_u32 v2, vcc_lo, v6, s22
	s_wait_alu 0xfffd
	v_add_co_ci_u32_e32 v3, vcc_lo, s23, v7, vcc_lo
	global_store_b32 v[2:3], v0, off
	global_load_b32 v0, v39, s[20:21] offset:19968
	s_wait_loadcnt 0x0
	v_lshrrev_b32_e32 v5, 16, v0
	s_delay_alu instid0(VALU_DEP_1) | instskip(SKIP_1) | instid1(VALU_DEP_2)
	v_mul_f16_e32 v6, v4, v5
	v_mul_f16_e32 v5, v1, v5
	v_fmac_f16_e32 v6, v1, v0
	s_delay_alu instid0(VALU_DEP_2) | instskip(NEXT) | instid1(VALU_DEP_2)
	v_fma_f16 v0, v0, v4, -v5
	v_cvt_f32_f16_e32 v1, v6
	s_delay_alu instid0(VALU_DEP_2) | instskip(NEXT) | instid1(VALU_DEP_2)
	v_cvt_f32_f16_e32 v4, v0
	v_cvt_f64_f32_e32 v[0:1], v1
	s_delay_alu instid0(VALU_DEP_2) | instskip(NEXT) | instid1(VALU_DEP_2)
	v_cvt_f64_f32_e32 v[4:5], v4
	v_mul_f64_e32 v[0:1], s[24:25], v[0:1]
	s_delay_alu instid0(VALU_DEP_2) | instskip(NEXT) | instid1(VALU_DEP_2)
	v_mul_f64_e32 v[4:5], s[24:25], v[4:5]
	v_and_or_b32 v0, 0x1ff, v1, v0
	s_delay_alu instid0(VALU_DEP_2)
	v_and_or_b32 v4, 0x1ff, v5, v4
	v_lshrrev_b32_e32 v6, 8, v1
	v_bfe_u32 v7, v1, 20, 11
	v_lshrrev_b32_e32 v8, 8, v5
	v_cmp_ne_u32_e32 vcc_lo, 0, v0
	v_bfe_u32 v9, v5, 20, 11
	v_lshrrev_b32_e32 v1, 16, v1
	v_sub_nc_u32_e32 v10, 0x3f1, v7
	v_add_nc_u32_e32 v7, 0xfffffc10, v7
	s_wait_alu 0xfffd
	v_cndmask_b32_e64 v0, 0, 1, vcc_lo
	v_cmp_ne_u32_e32 vcc_lo, 0, v4
	v_lshrrev_b32_e32 v5, 16, v5
	s_delay_alu instid0(VALU_DEP_3) | instskip(SKIP_4) | instid1(VALU_DEP_3)
	v_and_or_b32 v0, 0xffe, v6, v0
	s_wait_alu 0xfffd
	v_cndmask_b32_e64 v4, 0, 1, vcc_lo
	v_sub_nc_u32_e32 v6, 0x3f1, v9
	v_add_nc_u32_e32 v9, 0xfffffc10, v9
	v_and_or_b32 v4, 0xffe, v8, v4
	v_med3_i32 v8, v10, 0, 13
	v_or_b32_e32 v10, 0x1000, v0
	v_med3_i32 v6, v6, 0, 13
	s_delay_alu instid0(VALU_DEP_4) | instskip(NEXT) | instid1(VALU_DEP_3)
	v_or_b32_e32 v11, 0x1000, v4
	v_lshrrev_b32_e32 v12, v8, v10
	s_delay_alu instid0(VALU_DEP_2) | instskip(NEXT) | instid1(VALU_DEP_2)
	v_lshrrev_b32_e32 v13, v6, v11
	v_lshlrev_b32_e32 v8, v8, v12
	s_delay_alu instid0(VALU_DEP_2) | instskip(NEXT) | instid1(VALU_DEP_2)
	v_lshlrev_b32_e32 v6, v6, v13
	v_cmp_ne_u32_e32 vcc_lo, v8, v10
	v_lshl_or_b32 v10, v7, 12, v0
	s_wait_alu 0xfffd
	v_cndmask_b32_e64 v8, 0, 1, vcc_lo
	v_cmp_ne_u32_e32 vcc_lo, v6, v11
	v_lshl_or_b32 v11, v9, 12, v4
	s_delay_alu instid0(VALU_DEP_3) | instskip(SKIP_3) | instid1(VALU_DEP_2)
	v_or_b32_e32 v8, v12, v8
	s_wait_alu 0xfffd
	v_cndmask_b32_e64 v6, 0, 1, vcc_lo
	v_cmp_gt_i32_e32 vcc_lo, 1, v7
	v_or_b32_e32 v6, v13, v6
	s_wait_alu 0xfffd
	v_cndmask_b32_e32 v8, v10, v8, vcc_lo
	v_cmp_gt_i32_e32 vcc_lo, 1, v9
	s_wait_alu 0xfffd
	v_cndmask_b32_e32 v6, v11, v6, vcc_lo
	v_cmp_ne_u32_e32 vcc_lo, 0, v0
	s_delay_alu instid0(VALU_DEP_2)
	v_and_b32_e32 v11, 7, v6
	s_wait_alu 0xfffd
	v_cndmask_b32_e64 v0, 0, 1, vcc_lo
	v_and_b32_e32 v10, 7, v8
	v_cmp_ne_u32_e32 vcc_lo, 0, v4
	v_lshrrev_b32_e32 v8, 2, v8
	v_cmp_lt_i32_e64 s1, 5, v11
	v_cmp_eq_u32_e64 s2, 3, v11
	v_cmp_eq_u32_e64 s0, 3, v10
	s_wait_alu 0xfffd
	v_cndmask_b32_e64 v4, 0, 1, vcc_lo
	v_cmp_lt_i32_e32 vcc_lo, 5, v10
	v_lshrrev_b32_e32 v6, 2, v6
	v_lshl_or_b32 v0, v0, 9, 0x7c00
	s_delay_alu instid0(VALU_DEP_4)
	v_lshl_or_b32 v4, v4, 9, 0x7c00
	s_or_b32 vcc_lo, s0, vcc_lo
	s_wait_alu 0xfffe
	v_add_co_ci_u32_e32 v8, vcc_lo, 0, v8, vcc_lo
	s_or_b32 vcc_lo, s2, s1
	s_wait_alu 0xfffe
	v_add_co_ci_u32_e32 v6, vcc_lo, 0, v6, vcc_lo
	v_cmp_gt_i32_e32 vcc_lo, 31, v7
	s_wait_alu 0xfffd
	v_cndmask_b32_e32 v8, 0x7c00, v8, vcc_lo
	v_cmp_gt_i32_e32 vcc_lo, 31, v9
	s_wait_alu 0xfffd
	v_cndmask_b32_e32 v6, 0x7c00, v6, vcc_lo
	v_cmp_eq_u32_e32 vcc_lo, 0x40f, v7
	s_wait_alu 0xfffd
	v_cndmask_b32_e32 v0, v8, v0, vcc_lo
	v_cmp_eq_u32_e32 vcc_lo, 0x40f, v9
	s_delay_alu instid0(VALU_DEP_2) | instskip(SKIP_2) | instid1(VALU_DEP_1)
	v_and_or_b32 v0, 0x8000, v1, v0
	s_wait_alu 0xfffd
	v_cndmask_b32_e32 v4, v6, v4, vcc_lo
	v_and_or_b32 v4, 0x8000, v5, v4
	s_delay_alu instid0(VALU_DEP_3) | instskip(SKIP_3) | instid1(VALU_DEP_3)
	v_and_b32_e32 v5, 0xffff, v0
	v_add_co_u32 v0, vcc_lo, v2, s22
	s_wait_alu 0xfffd
	v_add_co_ci_u32_e32 v1, vcc_lo, s23, v3, vcc_lo
	v_lshl_or_b32 v2, v4, 16, v5
	global_store_b32 v[0:1], v2, off
	global_load_b32 v4, v39, s[20:21] offset:21504
	ds_load_2addr_stride64_b32 v[2:3], v39 offset0:84 offset1:90
	s_wait_dscnt 0x0
	v_lshrrev_b32_e32 v5, 16, v2
	s_wait_loadcnt 0x0
	v_lshrrev_b32_e32 v6, 16, v4
	s_delay_alu instid0(VALU_DEP_1) | instskip(SKIP_1) | instid1(VALU_DEP_2)
	v_mul_f16_e32 v7, v5, v6
	v_mul_f16_e32 v6, v2, v6
	v_fmac_f16_e32 v7, v2, v4
	s_delay_alu instid0(VALU_DEP_2) | instskip(NEXT) | instid1(VALU_DEP_2)
	v_fma_f16 v2, v4, v5, -v6
	v_cvt_f32_f16_e32 v4, v7
	s_delay_alu instid0(VALU_DEP_2) | instskip(NEXT) | instid1(VALU_DEP_2)
	v_cvt_f32_f16_e32 v2, v2
	v_cvt_f64_f32_e32 v[4:5], v4
	s_delay_alu instid0(VALU_DEP_2) | instskip(NEXT) | instid1(VALU_DEP_2)
	v_cvt_f64_f32_e32 v[6:7], v2
	v_mul_f64_e32 v[4:5], s[24:25], v[4:5]
	s_delay_alu instid0(VALU_DEP_2) | instskip(NEXT) | instid1(VALU_DEP_2)
	v_mul_f64_e32 v[6:7], s[24:25], v[6:7]
	v_and_or_b32 v2, 0x1ff, v5, v4
	s_delay_alu instid0(VALU_DEP_2)
	v_and_or_b32 v6, 0x1ff, v7, v6
	v_lshrrev_b32_e32 v4, 8, v5
	v_bfe_u32 v8, v5, 20, 11
	v_lshrrev_b32_e32 v9, 8, v7
	v_cmp_ne_u32_e32 vcc_lo, 0, v2
	v_bfe_u32 v10, v7, 20, 11
	v_lshrrev_b32_e32 v5, 16, v5
	v_sub_nc_u32_e32 v11, 0x3f1, v8
	v_add_nc_u32_e32 v8, 0xfffffc10, v8
	s_wait_alu 0xfffd
	v_cndmask_b32_e64 v2, 0, 1, vcc_lo
	v_cmp_ne_u32_e32 vcc_lo, 0, v6
	v_lshrrev_b32_e32 v7, 16, v7
	s_delay_alu instid0(VALU_DEP_3) | instskip(SKIP_4) | instid1(VALU_DEP_3)
	v_and_or_b32 v2, 0xffe, v4, v2
	s_wait_alu 0xfffd
	v_cndmask_b32_e64 v6, 0, 1, vcc_lo
	v_sub_nc_u32_e32 v4, 0x3f1, v10
	v_add_nc_u32_e32 v10, 0xfffffc10, v10
	v_and_or_b32 v6, 0xffe, v9, v6
	v_med3_i32 v9, v11, 0, 13
	v_or_b32_e32 v11, 0x1000, v2
	v_med3_i32 v4, v4, 0, 13
	s_delay_alu instid0(VALU_DEP_4) | instskip(NEXT) | instid1(VALU_DEP_3)
	v_or_b32_e32 v12, 0x1000, v6
	v_lshrrev_b32_e32 v13, v9, v11
	s_delay_alu instid0(VALU_DEP_2) | instskip(NEXT) | instid1(VALU_DEP_2)
	v_lshrrev_b32_e32 v14, v4, v12
	v_lshlrev_b32_e32 v9, v9, v13
	s_delay_alu instid0(VALU_DEP_2) | instskip(NEXT) | instid1(VALU_DEP_2)
	v_lshlrev_b32_e32 v4, v4, v14
	v_cmp_ne_u32_e32 vcc_lo, v9, v11
	v_lshl_or_b32 v11, v8, 12, v2
	s_wait_alu 0xfffd
	v_cndmask_b32_e64 v9, 0, 1, vcc_lo
	v_cmp_ne_u32_e32 vcc_lo, v4, v12
	v_lshl_or_b32 v12, v10, 12, v6
	s_delay_alu instid0(VALU_DEP_3) | instskip(SKIP_3) | instid1(VALU_DEP_2)
	v_or_b32_e32 v9, v13, v9
	s_wait_alu 0xfffd
	v_cndmask_b32_e64 v4, 0, 1, vcc_lo
	v_cmp_gt_i32_e32 vcc_lo, 1, v8
	v_or_b32_e32 v4, v14, v4
	s_wait_alu 0xfffd
	v_cndmask_b32_e32 v9, v11, v9, vcc_lo
	v_cmp_gt_i32_e32 vcc_lo, 1, v10
	s_wait_alu 0xfffd
	s_delay_alu instid0(VALU_DEP_2) | instskip(SKIP_2) | instid1(VALU_DEP_3)
	v_dual_cndmask_b32 v4, v12, v4 :: v_dual_and_b32 v11, 7, v9
	v_cmp_ne_u32_e32 vcc_lo, 0, v2
	v_lshrrev_b32_e32 v9, 2, v9
	v_cmp_eq_u32_e64 s0, 3, v11
	s_delay_alu instid0(VALU_DEP_4)
	v_and_b32_e32 v12, 7, v4
	s_wait_alu 0xfffd
	v_cndmask_b32_e64 v2, 0, 1, vcc_lo
	v_cmp_ne_u32_e32 vcc_lo, 0, v6
	v_lshrrev_b32_e32 v4, 2, v4
	v_cmp_lt_i32_e64 s1, 5, v12
	v_cmp_eq_u32_e64 s2, 3, v12
	s_wait_alu 0xfffd
	v_cndmask_b32_e64 v6, 0, 1, vcc_lo
	v_cmp_lt_i32_e32 vcc_lo, 5, v11
	v_lshl_or_b32 v2, v2, 9, 0x7c00
	s_delay_alu instid0(VALU_DEP_3)
	v_lshl_or_b32 v6, v6, 9, 0x7c00
	s_or_b32 vcc_lo, s0, vcc_lo
	s_wait_alu 0xfffe
	v_add_co_ci_u32_e32 v9, vcc_lo, 0, v9, vcc_lo
	s_or_b32 vcc_lo, s2, s1
	s_wait_alu 0xfffe
	v_add_co_ci_u32_e32 v4, vcc_lo, 0, v4, vcc_lo
	v_cmp_gt_i32_e32 vcc_lo, 31, v8
	s_wait_alu 0xfffd
	v_cndmask_b32_e32 v9, 0x7c00, v9, vcc_lo
	v_cmp_gt_i32_e32 vcc_lo, 31, v10
	s_wait_alu 0xfffd
	v_cndmask_b32_e32 v4, 0x7c00, v4, vcc_lo
	v_cmp_eq_u32_e32 vcc_lo, 0x40f, v8
	s_wait_alu 0xfffd
	v_cndmask_b32_e32 v2, v9, v2, vcc_lo
	v_cmp_eq_u32_e32 vcc_lo, 0x40f, v10
	s_delay_alu instid0(VALU_DEP_2)
	v_and_or_b32 v2, 0x8000, v5, v2
	s_wait_alu 0xfffd
	v_cndmask_b32_e32 v4, v4, v6, vcc_lo
	v_add_co_u32 v0, vcc_lo, v0, s22
	s_wait_alu 0xfffd
	v_add_co_ci_u32_e32 v1, vcc_lo, s23, v1, vcc_lo
	s_delay_alu instid0(VALU_DEP_3) | instskip(SKIP_1) | instid1(VALU_DEP_1)
	v_and_or_b32 v4, 0x8000, v7, v4
	v_and_b32_e32 v2, 0xffff, v2
	v_lshl_or_b32 v2, v4, 16, v2
	v_lshrrev_b32_e32 v4, 16, v3
	global_store_b32 v[0:1], v2, off
	global_load_b32 v2, v39, s[20:21] offset:23040
	s_wait_loadcnt 0x0
	v_lshrrev_b32_e32 v5, 16, v2
	s_delay_alu instid0(VALU_DEP_1) | instskip(SKIP_1) | instid1(VALU_DEP_2)
	v_mul_f16_e32 v6, v4, v5
	v_mul_f16_e32 v5, v3, v5
	v_fmac_f16_e32 v6, v3, v2
	s_delay_alu instid0(VALU_DEP_2) | instskip(NEXT) | instid1(VALU_DEP_2)
	v_fma_f16 v2, v2, v4, -v5
	v_cvt_f32_f16_e32 v3, v6
	s_delay_alu instid0(VALU_DEP_2) | instskip(NEXT) | instid1(VALU_DEP_2)
	v_cvt_f32_f16_e32 v4, v2
	v_cvt_f64_f32_e32 v[2:3], v3
	s_delay_alu instid0(VALU_DEP_2) | instskip(NEXT) | instid1(VALU_DEP_2)
	v_cvt_f64_f32_e32 v[4:5], v4
	v_mul_f64_e32 v[2:3], s[24:25], v[2:3]
	s_delay_alu instid0(VALU_DEP_2) | instskip(NEXT) | instid1(VALU_DEP_2)
	v_mul_f64_e32 v[4:5], s[24:25], v[4:5]
	v_and_or_b32 v2, 0x1ff, v3, v2
	s_delay_alu instid0(VALU_DEP_2)
	v_and_or_b32 v4, 0x1ff, v5, v4
	v_lshrrev_b32_e32 v6, 8, v3
	v_bfe_u32 v7, v3, 20, 11
	v_lshrrev_b32_e32 v8, 8, v5
	v_cmp_ne_u32_e32 vcc_lo, 0, v2
	v_bfe_u32 v9, v5, 20, 11
	v_lshrrev_b32_e32 v3, 16, v3
	v_sub_nc_u32_e32 v10, 0x3f1, v7
	v_add_nc_u32_e32 v7, 0xfffffc10, v7
	s_wait_alu 0xfffd
	v_cndmask_b32_e64 v2, 0, 1, vcc_lo
	v_cmp_ne_u32_e32 vcc_lo, 0, v4
	v_lshrrev_b32_e32 v5, 16, v5
	s_delay_alu instid0(VALU_DEP_3) | instskip(SKIP_4) | instid1(VALU_DEP_3)
	v_and_or_b32 v2, 0xffe, v6, v2
	s_wait_alu 0xfffd
	v_cndmask_b32_e64 v4, 0, 1, vcc_lo
	v_sub_nc_u32_e32 v6, 0x3f1, v9
	v_add_nc_u32_e32 v9, 0xfffffc10, v9
	v_and_or_b32 v4, 0xffe, v8, v4
	v_med3_i32 v8, v10, 0, 13
	v_or_b32_e32 v10, 0x1000, v2
	v_med3_i32 v6, v6, 0, 13
	s_delay_alu instid0(VALU_DEP_4) | instskip(NEXT) | instid1(VALU_DEP_3)
	v_or_b32_e32 v11, 0x1000, v4
	v_lshrrev_b32_e32 v12, v8, v10
	s_delay_alu instid0(VALU_DEP_2) | instskip(NEXT) | instid1(VALU_DEP_2)
	v_lshrrev_b32_e32 v13, v6, v11
	v_lshlrev_b32_e32 v8, v8, v12
	s_delay_alu instid0(VALU_DEP_2) | instskip(NEXT) | instid1(VALU_DEP_2)
	v_lshlrev_b32_e32 v6, v6, v13
	v_cmp_ne_u32_e32 vcc_lo, v8, v10
	v_lshl_or_b32 v10, v7, 12, v2
	s_wait_alu 0xfffd
	v_cndmask_b32_e64 v8, 0, 1, vcc_lo
	v_cmp_ne_u32_e32 vcc_lo, v6, v11
	v_lshl_or_b32 v11, v9, 12, v4
	s_delay_alu instid0(VALU_DEP_3) | instskip(SKIP_3) | instid1(VALU_DEP_2)
	v_or_b32_e32 v8, v12, v8
	s_wait_alu 0xfffd
	v_cndmask_b32_e64 v6, 0, 1, vcc_lo
	v_cmp_gt_i32_e32 vcc_lo, 1, v7
	v_or_b32_e32 v6, v13, v6
	s_wait_alu 0xfffd
	v_cndmask_b32_e32 v8, v10, v8, vcc_lo
	v_cmp_gt_i32_e32 vcc_lo, 1, v9
	s_delay_alu instid0(VALU_DEP_2)
	v_and_b32_e32 v10, 7, v8
	s_wait_alu 0xfffd
	v_cndmask_b32_e32 v6, v11, v6, vcc_lo
	v_cmp_ne_u32_e32 vcc_lo, 0, v2
	v_lshrrev_b32_e32 v8, 2, v8
	v_cmp_eq_u32_e64 s0, 3, v10
	s_delay_alu instid0(VALU_DEP_4)
	v_and_b32_e32 v11, 7, v6
	s_wait_alu 0xfffd
	v_cndmask_b32_e64 v2, 0, 1, vcc_lo
	v_cmp_ne_u32_e32 vcc_lo, 0, v4
	v_lshrrev_b32_e32 v6, 2, v6
	v_cmp_lt_i32_e64 s1, 5, v11
	v_cmp_eq_u32_e64 s2, 3, v11
	s_wait_alu 0xfffd
	v_cndmask_b32_e64 v4, 0, 1, vcc_lo
	v_cmp_lt_i32_e32 vcc_lo, 5, v10
	v_lshl_or_b32 v2, v2, 9, 0x7c00
	s_delay_alu instid0(VALU_DEP_3)
	v_lshl_or_b32 v4, v4, 9, 0x7c00
	s_or_b32 vcc_lo, s0, vcc_lo
	s_wait_alu 0xfffe
	v_add_co_ci_u32_e32 v8, vcc_lo, 0, v8, vcc_lo
	s_or_b32 vcc_lo, s2, s1
	s_wait_alu 0xfffe
	v_add_co_ci_u32_e32 v6, vcc_lo, 0, v6, vcc_lo
	v_cmp_gt_i32_e32 vcc_lo, 31, v7
	s_wait_alu 0xfffd
	v_cndmask_b32_e32 v8, 0x7c00, v8, vcc_lo
	v_cmp_gt_i32_e32 vcc_lo, 31, v9
	s_wait_alu 0xfffd
	v_cndmask_b32_e32 v6, 0x7c00, v6, vcc_lo
	v_cmp_eq_u32_e32 vcc_lo, 0x40f, v7
	s_wait_alu 0xfffd
	v_cndmask_b32_e32 v2, v8, v2, vcc_lo
	v_cmp_eq_u32_e32 vcc_lo, 0x40f, v9
	s_delay_alu instid0(VALU_DEP_2)
	v_and_or_b32 v2, 0x8000, v3, v2
	s_wait_alu 0xfffd
	v_cndmask_b32_e32 v4, v6, v4, vcc_lo
	v_add_co_u32 v0, vcc_lo, v0, s22
	s_wait_alu 0xfffd
	v_add_co_ci_u32_e32 v1, vcc_lo, s23, v1, vcc_lo
	s_delay_alu instid0(VALU_DEP_3) | instskip(SKIP_1) | instid1(VALU_DEP_1)
	v_and_or_b32 v3, 0x8000, v5, v4
	v_and_b32_e32 v2, 0xffff, v2
	v_lshl_or_b32 v2, v3, 16, v2
	global_store_b32 v[0:1], v2, off
.LBB0_25:
	s_nop 0
	s_sendmsg sendmsg(MSG_DEALLOC_VGPRS)
	s_endpgm
	.section	.rodata,"a",@progbits
	.p2align	6, 0x0
	.amdhsa_kernel bluestein_single_fwd_len6144_dim1_half_op_CI_CI
		.amdhsa_group_segment_fixed_size 24576
		.amdhsa_private_segment_fixed_size 0
		.amdhsa_kernarg_size 104
		.amdhsa_user_sgpr_count 2
		.amdhsa_user_sgpr_dispatch_ptr 0
		.amdhsa_user_sgpr_queue_ptr 0
		.amdhsa_user_sgpr_kernarg_segment_ptr 1
		.amdhsa_user_sgpr_dispatch_id 0
		.amdhsa_user_sgpr_private_segment_size 0
		.amdhsa_wavefront_size32 1
		.amdhsa_uses_dynamic_stack 0
		.amdhsa_enable_private_segment 0
		.amdhsa_system_sgpr_workgroup_id_x 1
		.amdhsa_system_sgpr_workgroup_id_y 0
		.amdhsa_system_sgpr_workgroup_id_z 0
		.amdhsa_system_sgpr_workgroup_info 0
		.amdhsa_system_vgpr_workitem_id 0
		.amdhsa_next_free_vgpr 167
		.amdhsa_next_free_sgpr 26
		.amdhsa_reserve_vcc 1
		.amdhsa_float_round_mode_32 0
		.amdhsa_float_round_mode_16_64 0
		.amdhsa_float_denorm_mode_32 3
		.amdhsa_float_denorm_mode_16_64 3
		.amdhsa_fp16_overflow 0
		.amdhsa_workgroup_processor_mode 1
		.amdhsa_memory_ordered 1
		.amdhsa_forward_progress 0
		.amdhsa_round_robin_scheduling 0
		.amdhsa_exception_fp_ieee_invalid_op 0
		.amdhsa_exception_fp_denorm_src 0
		.amdhsa_exception_fp_ieee_div_zero 0
		.amdhsa_exception_fp_ieee_overflow 0
		.amdhsa_exception_fp_ieee_underflow 0
		.amdhsa_exception_fp_ieee_inexact 0
		.amdhsa_exception_int_div_zero 0
	.end_amdhsa_kernel
	.text
.Lfunc_end0:
	.size	bluestein_single_fwd_len6144_dim1_half_op_CI_CI, .Lfunc_end0-bluestein_single_fwd_len6144_dim1_half_op_CI_CI
                                        ; -- End function
	.section	.AMDGPU.csdata,"",@progbits
; Kernel info:
; codeLenInByte = 24184
; NumSgprs: 28
; NumVgprs: 167
; ScratchSize: 0
; MemoryBound: 0
; FloatMode: 240
; IeeeMode: 1
; LDSByteSize: 24576 bytes/workgroup (compile time only)
; SGPRBlocks: 3
; VGPRBlocks: 20
; NumSGPRsForWavesPerEU: 28
; NumVGPRsForWavesPerEU: 167
; Occupancy: 9
; WaveLimiterHint : 1
; COMPUTE_PGM_RSRC2:SCRATCH_EN: 0
; COMPUTE_PGM_RSRC2:USER_SGPR: 2
; COMPUTE_PGM_RSRC2:TRAP_HANDLER: 0
; COMPUTE_PGM_RSRC2:TGID_X_EN: 1
; COMPUTE_PGM_RSRC2:TGID_Y_EN: 0
; COMPUTE_PGM_RSRC2:TGID_Z_EN: 0
; COMPUTE_PGM_RSRC2:TIDIG_COMP_CNT: 0
	.text
	.p2alignl 7, 3214868480
	.fill 96, 4, 3214868480
	.type	__hip_cuid_e5133c61e00d0a94,@object ; @__hip_cuid_e5133c61e00d0a94
	.section	.bss,"aw",@nobits
	.globl	__hip_cuid_e5133c61e00d0a94
__hip_cuid_e5133c61e00d0a94:
	.byte	0                               ; 0x0
	.size	__hip_cuid_e5133c61e00d0a94, 1

	.ident	"AMD clang version 19.0.0git (https://github.com/RadeonOpenCompute/llvm-project roc-6.4.0 25133 c7fe45cf4b819c5991fe208aaa96edf142730f1d)"
	.section	".note.GNU-stack","",@progbits
	.addrsig
	.addrsig_sym __hip_cuid_e5133c61e00d0a94
	.amdgpu_metadata
---
amdhsa.kernels:
  - .args:
      - .actual_access:  read_only
        .address_space:  global
        .offset:         0
        .size:           8
        .value_kind:     global_buffer
      - .actual_access:  read_only
        .address_space:  global
        .offset:         8
        .size:           8
        .value_kind:     global_buffer
      - .actual_access:  read_only
        .address_space:  global
        .offset:         16
        .size:           8
        .value_kind:     global_buffer
      - .actual_access:  read_only
        .address_space:  global
        .offset:         24
        .size:           8
        .value_kind:     global_buffer
      - .actual_access:  read_only
        .address_space:  global
        .offset:         32
        .size:           8
        .value_kind:     global_buffer
      - .offset:         40
        .size:           8
        .value_kind:     by_value
      - .address_space:  global
        .offset:         48
        .size:           8
        .value_kind:     global_buffer
      - .address_space:  global
        .offset:         56
        .size:           8
        .value_kind:     global_buffer
      - .address_space:  global
        .offset:         64
        .size:           8
        .value_kind:     global_buffer
      - .address_space:  global
        .offset:         72
        .size:           8
        .value_kind:     global_buffer
      - .offset:         80
        .size:           4
        .value_kind:     by_value
      - .address_space:  global
        .offset:         88
        .size:           8
        .value_kind:     global_buffer
      - .address_space:  global
        .offset:         96
        .size:           8
        .value_kind:     global_buffer
    .group_segment_fixed_size: 24576
    .kernarg_segment_align: 8
    .kernarg_segment_size: 104
    .language:       OpenCL C
    .language_version:
      - 2
      - 0
    .max_flat_workgroup_size: 512
    .name:           bluestein_single_fwd_len6144_dim1_half_op_CI_CI
    .private_segment_fixed_size: 0
    .sgpr_count:     28
    .sgpr_spill_count: 0
    .symbol:         bluestein_single_fwd_len6144_dim1_half_op_CI_CI.kd
    .uniform_work_group_size: 1
    .uses_dynamic_stack: false
    .vgpr_count:     167
    .vgpr_spill_count: 0
    .wavefront_size: 32
    .workgroup_processor_mode: 1
amdhsa.target:   amdgcn-amd-amdhsa--gfx1201
amdhsa.version:
  - 1
  - 2
...

	.end_amdgpu_metadata
